;; amdgpu-corpus repo=ROCm/rocFFT kind=compiled arch=gfx906 opt=O3
	.text
	.amdgcn_target "amdgcn-amd-amdhsa--gfx906"
	.amdhsa_code_object_version 6
	.protected	fft_rtc_back_len715_factors_13_5_11_wgs_195_tpt_65_halfLds_dp_op_CI_CI_sbrr_dirReg ; -- Begin function fft_rtc_back_len715_factors_13_5_11_wgs_195_tpt_65_halfLds_dp_op_CI_CI_sbrr_dirReg
	.globl	fft_rtc_back_len715_factors_13_5_11_wgs_195_tpt_65_halfLds_dp_op_CI_CI_sbrr_dirReg
	.p2align	8
	.type	fft_rtc_back_len715_factors_13_5_11_wgs_195_tpt_65_halfLds_dp_op_CI_CI_sbrr_dirReg,@function
fft_rtc_back_len715_factors_13_5_11_wgs_195_tpt_65_halfLds_dp_op_CI_CI_sbrr_dirReg: ; @fft_rtc_back_len715_factors_13_5_11_wgs_195_tpt_65_halfLds_dp_op_CI_CI_sbrr_dirReg
; %bb.0:
	s_load_dwordx4 s[16:19], s[4:5], 0x18
	s_load_dwordx4 s[12:15], s[4:5], 0x0
	;; [unrolled: 1-line block ×3, first 2 shown]
	v_mul_u32_u24_e32 v1, 0x3f1, v0
	v_lshrrev_b32_e32 v1, 16, v1
	s_waitcnt lgkmcnt(0)
	s_load_dwordx2 s[2:3], s[16:17], 0x0
	s_load_dwordx2 s[20:21], s[18:19], 0x0
	v_mad_u64_u32 v[6:7], s[0:1], s6, 3, v[1:2]
	v_mov_b32_e32 v3, 0
	v_mov_b32_e32 v1, 0
	;; [unrolled: 1-line block ×3, first 2 shown]
	v_cmp_lt_u64_e64 s[0:1], s[14:15], 2
	v_mov_b32_e32 v2, 0
	v_mov_b32_e32 v81, v2
	;; [unrolled: 1-line block ×3, first 2 shown]
	s_and_b64 vcc, exec, s[0:1]
	v_mov_b32_e32 v80, v1
	v_mov_b32_e32 v82, v6
	s_cbranch_vccnz .LBB0_8
; %bb.1:
	s_load_dwordx2 s[0:1], s[4:5], 0x10
	s_add_u32 s6, s18, 8
	s_addc_u32 s7, s19, 0
	s_add_u32 s22, s16, 8
	v_mov_b32_e32 v1, 0
	s_addc_u32 s23, s17, 0
	v_mov_b32_e32 v2, 0
	s_waitcnt lgkmcnt(0)
	s_add_u32 s24, s0, 8
	v_mov_b32_e32 v81, v2
	v_mov_b32_e32 v8, v7
	s_addc_u32 s25, s1, 0
	s_mov_b64 s[26:27], 1
	v_mov_b32_e32 v80, v1
	v_mov_b32_e32 v7, v6
.LBB0_2:                                ; =>This Inner Loop Header: Depth=1
	s_load_dwordx2 s[28:29], s[24:25], 0x0
                                        ; implicit-def: $vgpr82_vgpr83
	s_waitcnt lgkmcnt(0)
	v_or_b32_e32 v4, s29, v8
	v_cmp_ne_u64_e32 vcc, 0, v[3:4]
	s_and_saveexec_b64 s[0:1], vcc
	s_xor_b64 s[30:31], exec, s[0:1]
	s_cbranch_execz .LBB0_4
; %bb.3:                                ;   in Loop: Header=BB0_2 Depth=1
	v_cvt_f32_u32_e32 v4, s28
	v_cvt_f32_u32_e32 v5, s29
	s_sub_u32 s0, 0, s28
	s_subb_u32 s1, 0, s29
	v_mac_f32_e32 v4, 0x4f800000, v5
	v_rcp_f32_e32 v4, v4
	v_mul_f32_e32 v4, 0x5f7ffffc, v4
	v_mul_f32_e32 v5, 0x2f800000, v4
	v_trunc_f32_e32 v5, v5
	v_mac_f32_e32 v4, 0xcf800000, v5
	v_cvt_u32_f32_e32 v5, v5
	v_cvt_u32_f32_e32 v4, v4
	v_mul_lo_u32 v9, s0, v5
	v_mul_hi_u32 v10, s0, v4
	v_mul_lo_u32 v12, s1, v4
	v_mul_lo_u32 v11, s0, v4
	v_add_u32_e32 v9, v10, v9
	v_add_u32_e32 v9, v9, v12
	v_mul_hi_u32 v10, v4, v11
	v_mul_lo_u32 v12, v4, v9
	v_mul_hi_u32 v14, v4, v9
	v_mul_hi_u32 v13, v5, v11
	v_mul_lo_u32 v11, v5, v11
	v_mul_hi_u32 v15, v5, v9
	v_add_co_u32_e32 v10, vcc, v10, v12
	v_addc_co_u32_e32 v12, vcc, 0, v14, vcc
	v_mul_lo_u32 v9, v5, v9
	v_add_co_u32_e32 v10, vcc, v10, v11
	v_addc_co_u32_e32 v10, vcc, v12, v13, vcc
	v_addc_co_u32_e32 v11, vcc, 0, v15, vcc
	v_add_co_u32_e32 v9, vcc, v10, v9
	v_addc_co_u32_e32 v10, vcc, 0, v11, vcc
	v_add_co_u32_e32 v4, vcc, v4, v9
	v_addc_co_u32_e32 v5, vcc, v5, v10, vcc
	v_mul_lo_u32 v9, s0, v5
	v_mul_hi_u32 v10, s0, v4
	v_mul_lo_u32 v11, s1, v4
	v_mul_lo_u32 v12, s0, v4
	v_add_u32_e32 v9, v10, v9
	v_add_u32_e32 v9, v9, v11
	v_mul_lo_u32 v13, v4, v9
	v_mul_hi_u32 v14, v4, v12
	v_mul_hi_u32 v15, v4, v9
	;; [unrolled: 1-line block ×3, first 2 shown]
	v_mul_lo_u32 v12, v5, v12
	v_mul_hi_u32 v10, v5, v9
	v_add_co_u32_e32 v13, vcc, v14, v13
	v_addc_co_u32_e32 v14, vcc, 0, v15, vcc
	v_mul_lo_u32 v9, v5, v9
	v_add_co_u32_e32 v12, vcc, v13, v12
	v_addc_co_u32_e32 v11, vcc, v14, v11, vcc
	v_addc_co_u32_e32 v10, vcc, 0, v10, vcc
	v_add_co_u32_e32 v9, vcc, v11, v9
	v_addc_co_u32_e32 v10, vcc, 0, v10, vcc
	v_add_co_u32_e32 v9, vcc, v4, v9
	v_addc_co_u32_e32 v10, vcc, v5, v10, vcc
	v_mad_u64_u32 v[4:5], s[0:1], v7, v10, 0
	v_mul_hi_u32 v11, v7, v9
	v_add_co_u32_e32 v11, vcc, v11, v4
	v_addc_co_u32_e32 v12, vcc, 0, v5, vcc
	v_mad_u64_u32 v[4:5], s[0:1], v8, v9, 0
	v_mad_u64_u32 v[9:10], s[0:1], v8, v10, 0
	v_add_co_u32_e32 v4, vcc, v11, v4
	v_addc_co_u32_e32 v4, vcc, v12, v5, vcc
	v_addc_co_u32_e32 v5, vcc, 0, v10, vcc
	v_add_co_u32_e32 v9, vcc, v4, v9
	v_addc_co_u32_e32 v10, vcc, 0, v5, vcc
	v_mul_lo_u32 v11, s29, v9
	v_mul_lo_u32 v12, s28, v10
	v_mad_u64_u32 v[4:5], s[0:1], s28, v9, 0
	v_add3_u32 v5, v5, v12, v11
	v_sub_u32_e32 v11, v8, v5
	v_mov_b32_e32 v12, s29
	v_sub_co_u32_e32 v4, vcc, v7, v4
	v_subb_co_u32_e64 v11, s[0:1], v11, v12, vcc
	v_subrev_co_u32_e64 v12, s[0:1], s28, v4
	v_subbrev_co_u32_e64 v11, s[0:1], 0, v11, s[0:1]
	v_cmp_le_u32_e64 s[0:1], s29, v11
	v_cndmask_b32_e64 v13, 0, -1, s[0:1]
	v_cmp_le_u32_e64 s[0:1], s28, v12
	v_cndmask_b32_e64 v12, 0, -1, s[0:1]
	v_cmp_eq_u32_e64 s[0:1], s29, v11
	v_cndmask_b32_e64 v11, v13, v12, s[0:1]
	v_add_co_u32_e64 v12, s[0:1], 2, v9
	v_addc_co_u32_e64 v13, s[0:1], 0, v10, s[0:1]
	v_add_co_u32_e64 v14, s[0:1], 1, v9
	v_addc_co_u32_e64 v15, s[0:1], 0, v10, s[0:1]
	v_subb_co_u32_e32 v5, vcc, v8, v5, vcc
	v_cmp_ne_u32_e64 s[0:1], 0, v11
	v_cmp_le_u32_e32 vcc, s29, v5
	v_cndmask_b32_e64 v11, v15, v13, s[0:1]
	v_cndmask_b32_e64 v13, 0, -1, vcc
	v_cmp_le_u32_e32 vcc, s28, v4
	v_cndmask_b32_e64 v4, 0, -1, vcc
	v_cmp_eq_u32_e32 vcc, s29, v5
	v_cndmask_b32_e32 v4, v13, v4, vcc
	v_cmp_ne_u32_e32 vcc, 0, v4
	v_cndmask_b32_e64 v4, v14, v12, s[0:1]
	v_cndmask_b32_e32 v83, v10, v11, vcc
	v_cndmask_b32_e32 v82, v9, v4, vcc
.LBB0_4:                                ;   in Loop: Header=BB0_2 Depth=1
	s_andn2_saveexec_b64 s[0:1], s[30:31]
	s_cbranch_execz .LBB0_6
; %bb.5:                                ;   in Loop: Header=BB0_2 Depth=1
	v_cvt_f32_u32_e32 v4, s28
	s_sub_i32 s30, 0, s28
	v_mov_b32_e32 v83, v3
	v_rcp_iflag_f32_e32 v4, v4
	v_mul_f32_e32 v4, 0x4f7ffffe, v4
	v_cvt_u32_f32_e32 v4, v4
	v_mul_lo_u32 v5, s30, v4
	v_mul_hi_u32 v5, v4, v5
	v_add_u32_e32 v4, v4, v5
	v_mul_hi_u32 v4, v7, v4
	v_mul_lo_u32 v5, v4, s28
	v_add_u32_e32 v9, 1, v4
	v_sub_u32_e32 v5, v7, v5
	v_subrev_u32_e32 v10, s28, v5
	v_cmp_le_u32_e32 vcc, s28, v5
	v_cndmask_b32_e32 v5, v5, v10, vcc
	v_cndmask_b32_e32 v4, v4, v9, vcc
	v_add_u32_e32 v9, 1, v4
	v_cmp_le_u32_e32 vcc, s28, v5
	v_cndmask_b32_e32 v82, v4, v9, vcc
.LBB0_6:                                ;   in Loop: Header=BB0_2 Depth=1
	s_or_b64 exec, exec, s[0:1]
	v_mul_lo_u32 v9, v83, s28
	v_mul_lo_u32 v10, v82, s29
	v_mad_u64_u32 v[4:5], s[0:1], v82, s28, 0
	s_load_dwordx2 s[0:1], s[22:23], 0x0
	s_load_dwordx2 s[28:29], s[6:7], 0x0
	v_add3_u32 v5, v5, v10, v9
	v_sub_co_u32_e32 v4, vcc, v7, v4
	v_subb_co_u32_e32 v5, vcc, v8, v5, vcc
	s_waitcnt lgkmcnt(0)
	v_mul_lo_u32 v7, s0, v5
	v_mul_lo_u32 v8, s1, v4
	v_mad_u64_u32 v[1:2], s[0:1], s0, v4, v[1:2]
	v_mul_lo_u32 v5, s28, v5
	v_mul_lo_u32 v9, s29, v4
	v_mad_u64_u32 v[80:81], s[0:1], s28, v4, v[80:81]
	s_add_u32 s26, s26, 1
	s_addc_u32 s27, s27, 0
	s_add_u32 s6, s6, 8
	v_add3_u32 v81, v9, v81, v5
	s_addc_u32 s7, s7, 0
	v_mov_b32_e32 v4, s14
	s_add_u32 s22, s22, 8
	v_mov_b32_e32 v5, s15
	s_addc_u32 s23, s23, 0
	v_cmp_ge_u64_e32 vcc, s[26:27], v[4:5]
	s_add_u32 s24, s24, 8
	v_add3_u32 v2, v8, v2, v7
	s_addc_u32 s25, s25, 0
	s_cbranch_vccnz .LBB0_8
; %bb.7:                                ;   in Loop: Header=BB0_2 Depth=1
	v_mov_b32_e32 v7, v82
	v_mov_b32_e32 v8, v83
	s_branch .LBB0_2
.LBB0_8:
	s_lshl_b64 s[22:23], s[14:15], 3
	s_load_dwordx2 s[0:1], s[4:5], 0x28
	s_add_u32 s4, s18, s22
	s_mov_b32 s5, 0x3f03f04
	v_mul_hi_u32 v3, v0, s5
	s_addc_u32 s5, s19, s23
	s_load_dwordx2 s[4:5], s[4:5], 0x0
	s_waitcnt lgkmcnt(0)
	v_cmp_gt_u64_e32 vcc, s[0:1], v[82:83]
	v_mul_u32_u24_e32 v3, 0x41, v3
	v_sub_u32_e32 v129, v0, v3
	v_mov_b32_e32 v128, 0
                                        ; implicit-def: $vgpr10_vgpr11
                                        ; implicit-def: $vgpr18_vgpr19
                                        ; implicit-def: $vgpr22_vgpr23
                                        ; implicit-def: $vgpr26_vgpr27
                                        ; implicit-def: $vgpr30_vgpr31
                                        ; implicit-def: $vgpr34_vgpr35
                                        ; implicit-def: $vgpr38_vgpr39
                                        ; implicit-def: $vgpr42_vgpr43
                                        ; implicit-def: $vgpr46_vgpr47
                                        ; implicit-def: $vgpr50_vgpr51
                                        ; implicit-def: $vgpr54_vgpr55
                                        ; implicit-def: $vgpr58_vgpr59
                                        ; implicit-def: $vgpr14_vgpr15
	s_and_saveexec_b64 s[6:7], vcc
	s_cbranch_execz .LBB0_12
; %bb.9:
	v_cmp_gt_u32_e64 s[0:1], 55, v129
                                        ; implicit-def: $vgpr12_vgpr13
                                        ; implicit-def: $vgpr56_vgpr57
                                        ; implicit-def: $vgpr52_vgpr53
                                        ; implicit-def: $vgpr48_vgpr49
                                        ; implicit-def: $vgpr44_vgpr45
                                        ; implicit-def: $vgpr40_vgpr41
                                        ; implicit-def: $vgpr36_vgpr37
                                        ; implicit-def: $vgpr32_vgpr33
                                        ; implicit-def: $vgpr28_vgpr29
                                        ; implicit-def: $vgpr24_vgpr25
                                        ; implicit-def: $vgpr20_vgpr21
                                        ; implicit-def: $vgpr16_vgpr17
                                        ; implicit-def: $vgpr8_vgpr9
	s_and_saveexec_b64 s[14:15], s[0:1]
	s_cbranch_execz .LBB0_11
; %bb.10:
	s_add_u32 s0, s16, s22
	s_addc_u32 s1, s17, s23
	s_load_dwordx2 s[0:1], s[0:1], 0x0
	v_mad_u64_u32 v[3:4], s[16:17], s2, v129, 0
	v_add_u32_e32 v11, 0xdc, v129
	v_add_u32_e32 v13, 0x14a, v129
	s_waitcnt lgkmcnt(0)
	v_mul_lo_u32 v9, s1, v82
	v_mul_lo_u32 v10, s0, v83
	v_mad_u64_u32 v[7:8], s[0:1], s0, v82, 0
	v_mov_b32_e32 v0, v4
	v_mad_u64_u32 v[4:5], s[0:1], s3, v129, v[0:1]
	v_add3_u32 v8, v8, v10, v9
	v_lshlrev_b64 v[7:8], 4, v[7:8]
	v_mov_b32_e32 v0, s9
	v_add_co_u32_e64 v5, s[0:1], s8, v7
	v_add_u32_e32 v10, 55, v129
	v_addc_co_u32_e64 v9, s[0:1], v0, v8, s[0:1]
	v_mad_u64_u32 v[7:8], s[0:1], s2, v10, 0
	v_lshlrev_b64 v[0:1], 4, v[1:2]
	v_add_co_u32_e64 v15, s[0:1], v5, v0
	v_mov_b32_e32 v2, v8
	v_addc_co_u32_e64 v16, s[0:1], v9, v1, s[0:1]
	v_lshlrev_b64 v[0:1], 4, v[3:4]
	v_mad_u64_u32 v[2:3], s[0:1], s3, v10, v[2:3]
	v_add_u32_e32 v5, 0x6e, v129
	v_mad_u64_u32 v[3:4], s[0:1], s2, v5, 0
	v_add_co_u32_e64 v0, s[0:1], v15, v0
	v_mov_b32_e32 v8, v2
	v_mov_b32_e32 v2, v4
	v_addc_co_u32_e64 v1, s[0:1], v16, v1, s[0:1]
	v_mad_u64_u32 v[4:5], s[0:1], s3, v5, v[2:3]
	v_add_u32_e32 v5, 0xa5, v129
	v_mad_u64_u32 v[9:10], s[0:1], s2, v5, 0
	v_lshlrev_b64 v[7:8], 4, v[7:8]
	v_lshlrev_b64 v[2:3], 4, v[3:4]
	v_add_co_u32_e64 v60, s[0:1], v15, v7
	v_mov_b32_e32 v4, v10
	v_addc_co_u32_e64 v61, s[0:1], v16, v8, s[0:1]
	v_mad_u64_u32 v[4:5], s[0:1], s3, v5, v[4:5]
	v_mad_u64_u32 v[7:8], s[0:1], s2, v11, 0
	v_add_co_u32_e64 v2, s[0:1], v15, v2
	v_mov_b32_e32 v10, v4
	v_addc_co_u32_e64 v3, s[0:1], v16, v3, s[0:1]
	v_lshlrev_b64 v[4:5], 4, v[9:10]
	v_mad_u64_u32 v[8:9], s[0:1], s3, v11, v[8:9]
	v_add_u32_e32 v11, 0x113, v129
	v_mad_u64_u32 v[9:10], s[0:1], s2, v11, 0
	v_add_co_u32_e64 v4, s[0:1], v15, v4
	v_addc_co_u32_e64 v5, s[0:1], v16, v5, s[0:1]
	v_mad_u64_u32 v[10:11], s[0:1], s3, v11, v[10:11]
	v_mad_u64_u32 v[11:12], s[0:1], s2, v13, 0
	v_lshlrev_b64 v[7:8], 4, v[7:8]
	v_add_co_u32_e64 v62, s[0:1], v15, v7
	v_addc_co_u32_e64 v63, s[0:1], v16, v8, s[0:1]
	v_lshlrev_b64 v[7:8], 4, v[9:10]
	v_mov_b32_e32 v9, v12
	v_mad_u64_u32 v[9:10], s[0:1], s3, v13, v[9:10]
	v_add_u32_e32 v10, 0x181, v129
	v_mad_u64_u32 v[13:14], s[0:1], s2, v10, 0
	v_add_co_u32_e64 v64, s[0:1], v15, v7
	v_mov_b32_e32 v12, v9
	v_mov_b32_e32 v9, v14
	v_addc_co_u32_e64 v65, s[0:1], v16, v8, s[0:1]
	v_lshlrev_b64 v[7:8], 4, v[11:12]
	v_mad_u64_u32 v[9:10], s[0:1], s3, v10, v[9:10]
	v_add_u32_e32 v12, 0x1b8, v129
	v_mad_u64_u32 v[10:11], s[0:1], s2, v12, 0
	v_add_co_u32_e64 v66, s[0:1], v15, v7
	v_mov_b32_e32 v14, v9
	v_mov_b32_e32 v9, v11
	v_addc_co_u32_e64 v67, s[0:1], v16, v8, s[0:1]
	v_lshlrev_b64 v[7:8], 4, v[13:14]
	v_mad_u64_u32 v[11:12], s[0:1], s3, v12, v[9:10]
	v_add_u32_e32 v14, 0x1ef, v129
	v_mad_u64_u32 v[12:13], s[0:1], s2, v14, 0
	v_add_co_u32_e64 v68, s[0:1], v15, v7
	v_mov_b32_e32 v9, v13
	v_addc_co_u32_e64 v69, s[0:1], v16, v8, s[0:1]
	v_lshlrev_b64 v[7:8], 4, v[10:11]
	v_mad_u64_u32 v[9:10], s[0:1], s3, v14, v[9:10]
	v_add_u32_e32 v14, 0x226, v129
	v_mad_u64_u32 v[10:11], s[0:1], s2, v14, 0
	v_add_co_u32_e64 v70, s[0:1], v15, v7
	v_mov_b32_e32 v13, v9
	v_mov_b32_e32 v9, v11
	v_addc_co_u32_e64 v71, s[0:1], v16, v8, s[0:1]
	v_lshlrev_b64 v[7:8], 4, v[12:13]
	v_mad_u64_u32 v[11:12], s[0:1], s3, v14, v[9:10]
	v_add_u32_e32 v14, 0x25d, v129
	v_mad_u64_u32 v[12:13], s[0:1], s2, v14, 0
	v_add_co_u32_e64 v72, s[0:1], v15, v7
	v_mov_b32_e32 v9, v13
	v_addc_co_u32_e64 v73, s[0:1], v16, v8, s[0:1]
	v_lshlrev_b64 v[7:8], 4, v[10:11]
	v_mad_u64_u32 v[9:10], s[0:1], s3, v14, v[9:10]
	v_add_u32_e32 v14, 0x294, v129
	v_mad_u64_u32 v[10:11], s[0:1], s2, v14, 0
	v_add_co_u32_e64 v74, s[0:1], v15, v7
	v_mov_b32_e32 v13, v9
	v_mov_b32_e32 v9, v11
	v_addc_co_u32_e64 v75, s[0:1], v16, v8, s[0:1]
	v_lshlrev_b64 v[7:8], 4, v[12:13]
	v_mad_u64_u32 v[11:12], s[0:1], s3, v14, v[9:10]
	v_add_co_u32_e64 v76, s[0:1], v15, v7
	v_addc_co_u32_e64 v77, s[0:1], v16, v8, s[0:1]
	v_lshlrev_b64 v[7:8], 4, v[10:11]
	v_add_co_u32_e64 v78, s[0:1], v15, v7
	v_addc_co_u32_e64 v79, s[0:1], v16, v8, s[0:1]
	global_load_dwordx4 v[12:15], v[0:1], off
	global_load_dwordx4 v[56:59], v[60:61], off
	;; [unrolled: 1-line block ×13, first 2 shown]
.LBB0_11:
	s_or_b64 exec, exec, s[14:15]
	v_mov_b32_e32 v128, v129
.LBB0_12:
	s_or_b64 exec, exec, s[6:7]
	s_waitcnt vmcnt(0)
	v_add_f64 v[60:61], v[58:59], -v[10:11]
	s_mov_b32 s0, 0x42a4c3d2
	s_mov_b32 s1, 0xbfea55e2
	v_add_f64 v[78:79], v[8:9], v[56:57]
	v_add_f64 v[64:65], v[54:55], -v[18:19]
	s_mov_b32 s6, 0x1ea71119
	s_mov_b32 s8, 0x2ef20147
	;; [unrolled: 1-line block ×3, first 2 shown]
	v_mul_f64 v[62:63], v[60:61], s[0:1]
	s_mov_b32 s7, 0x3fe22d96
	s_mov_b32 s9, 0xbfedeba7
	;; [unrolled: 1-line block ×3, first 2 shown]
	v_add_f64 v[88:89], v[16:17], v[52:53]
	v_mul_f64 v[66:67], v[64:65], s[8:9]
	v_mul_f64 v[68:69], v[60:61], s[14:15]
	s_mov_b32 s28, 0xb2365da1
	v_fma_f64 v[0:1], v[78:79], s[6:7], -v[62:63]
	s_mov_b32 s18, 0xebaa3ed8
	s_mov_b32 s16, 0x4bc48dbf
	;; [unrolled: 1-line block ×5, first 2 shown]
	v_add_f64 v[74:75], v[50:51], -v[22:23]
	v_fma_f64 v[2:3], v[88:89], s[28:29], -v[66:67]
	v_add_f64 v[0:1], v[12:13], v[0:1]
	v_fma_f64 v[4:5], v[78:79], s[18:19], -v[68:69]
	v_mul_f64 v[72:73], v[64:65], s[16:17]
	s_mov_b32 s22, 0x93053d00
	s_mov_b32 s26, 0x4267c47c
	;; [unrolled: 1-line block ×6, first 2 shown]
	v_add_f64 v[86:87], v[20:21], v[48:49]
	v_add_f64 v[4:5], v[12:13], v[4:5]
	;; [unrolled: 1-line block ×3, first 2 shown]
	v_fma_f64 v[2:3], v[88:89], s[22:23], -v[72:73]
	v_mul_f64 v[76:77], v[74:75], s[24:25]
	v_mul_f64 v[96:97], v[60:61], s[26:27]
	s_mov_b32 s38, 0xe00740e9
	s_mov_b32 s39, 0x3fec55a7
	v_mul_f64 v[70:71], v[74:75], s[16:17]
	v_mul_f64 v[98:99], v[64:65], s[0:1]
	v_add_f64 v[84:85], v[46:47], -v[26:27]
	v_add_f64 v[2:3], v[2:3], v[4:5]
	v_fma_f64 v[4:5], v[86:87], s[28:29], -v[76:77]
	v_fma_f64 v[92:93], v[78:79], s[38:39], -v[96:97]
	v_mul_f64 v[104:105], v[74:75], s[14:15]
	s_mov_b32 s34, 0x24c2f84
	v_fma_f64 v[90:91], v[86:87], s[22:23], -v[70:71]
	s_mov_b32 s35, 0x3fe5384d
	s_mov_b32 s37, 0x3fddbe06
	;; [unrolled: 1-line block ×3, first 2 shown]
	v_add_f64 v[2:3], v[4:5], v[2:3]
	v_add_f64 v[4:5], v[12:13], v[92:93]
	v_fma_f64 v[92:93], v[88:89], s[6:7], -v[98:99]
	v_add_f64 v[116:117], v[24:25], v[44:45]
	v_add_f64 v[0:1], v[90:91], v[0:1]
	v_mul_f64 v[90:91], v[84:85], s[34:35]
	v_mul_f64 v[94:95], v[84:85], s[36:37]
	v_add_f64 v[118:119], v[42:43], -v[30:31]
	v_fma_f64 v[110:111], v[86:87], s[18:19], -v[104:105]
	v_mul_f64 v[106:107], v[84:85], s[8:9]
	v_add_f64 v[4:5], v[92:93], v[4:5]
	s_mov_b32 s46, 0xd0032e0c
	s_mov_b32 s47, 0xbfe7f3cc
	;; [unrolled: 1-line block ×6, first 2 shown]
	v_fma_f64 v[108:109], v[116:117], s[46:47], -v[90:91]
	v_fma_f64 v[112:113], v[116:117], s[38:39], -v[94:95]
	v_add_f64 v[120:121], v[28:29], v[40:41]
	v_mul_f64 v[100:101], v[118:119], s[40:41]
	v_mul_f64 v[102:103], v[118:119], s[0:1]
	v_add_f64 v[92:93], v[38:39], -v[34:35]
	v_add_f64 v[4:5], v[110:111], v[4:5]
	v_fma_f64 v[114:115], v[116:117], s[28:29], -v[106:107]
	v_mul_f64 v[110:111], v[118:119], s[42:43]
	v_add_f64 v[0:1], v[108:109], v[0:1]
	v_add_f64 v[2:3], v[112:113], v[2:3]
	v_fma_f64 v[124:125], v[120:121], s[18:19], -v[100:101]
	v_fma_f64 v[126:127], v[120:121], s[6:7], -v[102:103]
	v_add_f64 v[122:123], v[32:33], v[36:37]
	v_mul_f64 v[108:109], v[92:93], s[36:37]
	v_mul_f64 v[112:113], v[92:93], s[42:43]
	v_add_f64 v[4:5], v[114:115], v[4:5]
	v_fma_f64 v[130:131], v[120:121], s[46:47], -v[110:111]
	v_mul_f64 v[114:115], v[92:93], s[16:17]
	v_add_f64 v[0:1], v[124:125], v[0:1]
	v_add_f64 v[126:127], v[126:127], v[2:3]
	s_mov_b32 s2, 0xaaaaaaab
	v_fma_f64 v[124:125], v[122:123], s[38:39], -v[108:109]
	v_fma_f64 v[132:133], v[122:123], s[46:47], -v[112:113]
	v_mul_hi_u32 v7, v6, s2
	v_add_f64 v[4:5], v[130:131], v[4:5]
	v_fma_f64 v[130:131], v[122:123], s[22:23], -v[114:115]
	v_cmp_gt_u32_e64 s[2:3], 55, v129
	v_lshrrev_b32_e32 v7, 1, v7
	v_lshl_add_u32 v7, v7, 1, v7
	v_add_f64 v[2:3], v[124:125], v[0:1]
	v_add_f64 v[0:1], v[132:133], v[126:127]
	v_sub_u32_e32 v6, v6, v7
	v_mul_u32_u24_e32 v6, 0x2cb, v6
	v_add_f64 v[4:5], v[130:131], v[4:5]
	v_lshlrev_b32_e32 v130, 3, v6
	s_and_saveexec_b64 s[30:31], s[2:3]
	s_cbranch_execz .LBB0_14
; %bb.13:
	v_mul_f64 v[6:7], v[78:79], s[22:23]
	s_mov_b32 s45, 0x3fcea1e5
	s_mov_b32 s44, s16
	v_mul_f64 v[133:134], v[88:89], s[38:39]
	v_mul_f64 v[143:144], v[86:87], s[46:47]
	;; [unrolled: 1-line block ×5, first 2 shown]
	v_fma_f64 v[135:136], v[60:61], s[44:45], v[6:7]
	v_mul_f64 v[124:125], v[78:79], s[38:39]
	v_mul_f64 v[126:127], v[78:79], s[6:7]
	v_fma_f64 v[145:146], v[64:65], s[26:27], v[133:134]
	v_fma_f64 v[155:156], v[74:75], s[34:35], v[143:144]
	v_fma_f64 v[157:158], v[84:85], s[0:1], v[153:154]
	v_mul_f64 v[131:132], v[78:79], s[18:19]
	v_fma_f64 v[169:170], v[92:93], s[14:15], v[161:162]
	v_add_f64 v[135:136], v[12:13], v[135:136]
	v_mul_f64 v[173:174], v[88:89], s[18:19]
	v_fma_f64 v[175:176], v[60:61], s[34:35], v[167:168]
	v_fma_f64 v[167:168], v[60:61], s[42:43], v[167:168]
	v_mul_f64 v[78:79], v[78:79], s[28:29]
	v_mul_f64 v[137:138], v[88:89], s[6:7]
	;; [unrolled: 1-line block ×4, first 2 shown]
	v_add_f64 v[135:136], v[145:146], v[135:136]
	v_mul_f64 v[145:146], v[120:121], s[28:29]
	v_fma_f64 v[177:178], v[64:65], s[14:15], v[173:174]
	v_add_f64 v[175:176], v[12:13], v[175:176]
	v_fma_f64 v[173:174], v[64:65], s[40:41], v[173:174]
	v_add_f64 v[167:168], v[12:13], v[167:168]
	v_mul_f64 v[88:89], v[88:89], s[46:47]
	v_fma_f64 v[181:182], v[60:61], s[24:25], v[78:79]
	v_add_f64 v[135:136], v[155:156], v[135:136]
	v_fma_f64 v[163:164], v[118:119], s[24:25], v[145:146]
	v_add_f64 v[183:184], v[56:57], v[12:13]
	s_mov_b32 s49, 0x3fea55e2
	s_mov_b32 s48, s0
	v_mul_f64 v[147:148], v[86:87], s[18:19]
	v_mul_f64 v[149:150], v[86:87], s[22:23]
	;; [unrolled: 1-line block ×3, first 2 shown]
	v_add_f64 v[135:136], v[157:158], v[135:136]
	v_add_f64 v[175:176], v[177:178], v[175:176]
	;; [unrolled: 1-line block ×3, first 2 shown]
	v_fma_f64 v[173:174], v[64:65], s[42:43], v[88:89]
	v_add_f64 v[177:178], v[12:13], v[181:182]
	v_add_f64 v[181:182], v[52:53], v[183:184]
	v_fma_f64 v[6:7], v[60:61], s[16:17], v[6:7]
	v_fma_f64 v[133:134], v[64:65], s[36:37], v[133:134]
	v_add_f64 v[135:136], v[163:164], v[135:136]
	v_fma_f64 v[143:144], v[74:75], s[42:43], v[143:144]
	v_fma_f64 v[153:154], v[84:85], s[48:49], v[153:154]
	v_add_f64 v[68:69], v[68:69], v[131:132]
	v_add_f64 v[173:174], v[173:174], v[177:178]
	;; [unrolled: 1-line block ×4, first 2 shown]
	v_fma_f64 v[64:65], v[64:65], s[34:35], v[88:89]
	v_add_f64 v[135:136], v[169:170], v[135:136]
	v_mul_f64 v[169:170], v[86:87], s[6:7]
	v_mul_f64 v[86:87], v[86:87], s[38:39]
	v_add_f64 v[62:63], v[62:63], v[126:127]
	v_fma_f64 v[145:146], v[118:119], s[8:9], v[145:146]
	v_fma_f64 v[60:61], v[60:61], s[8:9], v[78:79]
	v_add_f64 v[6:7], v[133:134], v[6:7]
	v_add_f64 v[72:73], v[72:73], v[141:142]
	v_add_f64 v[68:69], v[12:13], v[68:69]
	v_fma_f64 v[185:186], v[74:75], s[48:49], v[169:170]
	v_fma_f64 v[169:170], v[74:75], s[0:1], v[169:170]
	v_add_f64 v[78:79], v[98:99], v[137:138]
	v_add_f64 v[66:67], v[66:67], v[139:140]
	;; [unrolled: 1-line block ×4, first 2 shown]
	v_fma_f64 v[161:162], v[92:93], s[40:41], v[161:162]
	v_mul_f64 v[179:180], v[116:117], s[22:23]
	v_mul_f64 v[133:134], v[116:117], s[28:29]
	v_add_f64 v[167:168], v[169:170], v[167:168]
	v_fma_f64 v[169:170], v[74:75], s[26:27], v[86:87]
	v_fma_f64 v[74:75], v[74:75], s[36:37], v[86:87]
	v_add_f64 v[86:87], v[96:97], v[124:125]
	v_add_f64 v[6:7], v[153:154], v[6:7]
	v_mul_f64 v[155:156], v[116:117], s[38:39]
	v_add_f64 v[68:69], v[72:73], v[68:69]
	v_add_f64 v[72:73], v[104:105], v[147:148]
	v_mul_f64 v[143:144], v[116:117], s[46:47]
	v_add_f64 v[169:170], v[169:170], v[173:174]
	v_add_f64 v[173:174], v[44:45], v[177:178]
	;; [unrolled: 1-line block ×8, first 2 shown]
	v_fma_f64 v[183:184], v[84:85], s[16:17], v[179:180]
	v_add_f64 v[173:174], v[40:41], v[173:174]
	v_add_f64 v[76:77], v[78:79], v[86:87]
	;; [unrolled: 1-line block ×3, first 2 shown]
	v_mul_f64 v[161:162], v[120:121], s[38:39]
	v_fma_f64 v[179:180], v[84:85], s[44:45], v[179:180]
	v_mul_f64 v[116:117], v[116:117], s[18:19]
	v_add_f64 v[12:13], v[64:65], v[12:13]
	v_mul_f64 v[159:160], v[120:121], s[46:47]
	v_add_f64 v[88:89], v[36:37], v[173:174]
	;; [unrolled: 2-line block ×3, first 2 shown]
	v_add_f64 v[60:61], v[60:61], v[68:69]
	v_add_f64 v[68:69], v[106:107], v[133:134]
	;; [unrolled: 1-line block ×3, first 2 shown]
	v_mul_f64 v[153:154], v[120:121], s[18:19]
	v_add_f64 v[66:67], v[90:91], v[143:144]
	v_add_f64 v[88:89], v[32:33], v[88:89]
	;; [unrolled: 1-line block ×3, first 2 shown]
	v_fma_f64 v[181:182], v[118:119], s[26:27], v[161:162]
	v_fma_f64 v[161:162], v[118:119], s[36:37], v[161:162]
	v_add_f64 v[167:168], v[179:180], v[167:168]
	v_mul_f64 v[120:121], v[120:121], s[22:23]
	v_fma_f64 v[179:180], v[84:85], s[40:41], v[116:117]
	v_fma_f64 v[84:85], v[84:85], s[14:15], v[116:117]
	v_add_f64 v[78:79], v[28:29], v[88:89]
	v_add_f64 v[12:13], v[74:75], v[12:13]
	;; [unrolled: 1-line block ×3, first 2 shown]
	v_mul_f64 v[165:166], v[122:123], s[22:23]
	v_mul_f64 v[163:164], v[122:123], s[46:47]
	v_add_f64 v[70:71], v[102:103], v[157:158]
	v_add_f64 v[60:61], v[64:65], v[60:61]
	;; [unrolled: 1-line block ×5, first 2 shown]
	v_mul_f64 v[145:146], v[122:123], s[38:39]
	v_add_f64 v[64:65], v[100:101], v[153:154]
	v_add_f64 v[62:63], v[66:67], v[62:63]
	v_mul_f64 v[171:172], v[122:123], s[28:29]
	v_mul_f64 v[122:123], v[122:123], s[6:7]
	v_add_f64 v[161:162], v[161:162], v[167:168]
	v_add_f64 v[72:73], v[20:21], v[76:77]
	v_fma_f64 v[167:168], v[118:119], s[16:17], v[120:121]
	v_fma_f64 v[118:119], v[118:119], s[44:45], v[120:121]
	v_add_f64 v[12:13], v[84:85], v[12:13]
	v_add_f64 v[175:176], v[183:184], v[175:176]
	;; [unrolled: 1-line block ×10, first 2 shown]
	v_fma_f64 v[177:178], v[92:93], s[24:25], v[171:172]
	v_fma_f64 v[171:172], v[92:93], s[8:9], v[171:172]
	v_fma_f64 v[179:180], v[92:93], s[48:49], v[122:123]
	v_add_f64 v[12:13], v[118:119], v[12:13]
	v_add_f64 v[175:176], v[181:182], v[175:176]
	v_fma_f64 v[64:65], v[92:93], s[0:1], v[122:123]
	v_add_f64 v[74:75], v[167:168], v[169:170]
	v_add_f64 v[60:61], v[66:67], v[60:61]
	;; [unrolled: 1-line block ×9, first 2 shown]
	v_mul_u32_u24_e32 v72, 0x68, v129
	v_add3_u32 v72, 0, v72, v130
	ds_write2_b64 v72, v[68:69], v[66:67] offset1:1
	ds_write2_b64 v72, v[62:63], v[60:61] offset0:2 offset1:3
	ds_write2_b64 v72, v[12:13], v[78:79] offset0:4 offset1:5
	;; [unrolled: 1-line block ×5, first 2 shown]
	ds_write_b64 v72, v[4:5] offset:96
.LBB0_14:
	s_or_b64 exec, exec, s[30:31]
	v_lshlrev_b32_e32 v6, 3, v129
	v_add_u32_e32 v133, 0, v6
	v_add_u32_e32 v132, v133, v130
	;; [unrolled: 1-line block ×3, first 2 shown]
	s_waitcnt lgkmcnt(0)
	s_barrier
	v_add3_u32 v131, 0, v130, v6
	v_add_u32_e32 v6, 0x400, v132
	ds_read2_b64 v[72:75], v7 offset0:95 offset1:173
	v_add_u32_e32 v7, 0xc00, v132
	ds_read2_b64 v[64:67], v132 offset0:65 offset1:143
	ds_read2_b64 v[68:71], v6 offset0:80 offset1:158
	;; [unrolled: 1-line block ×3, first 2 shown]
	ds_read_b64 v[84:85], v131
	ds_read_b64 v[86:87], v132 offset:5096
	v_cmp_gt_u32_e64 s[0:1], 13, v129
                                        ; implicit-def: $vgpr88_vgpr89
	s_and_saveexec_b64 s[6:7], s[0:1]
	s_cbranch_execz .LBB0_16
; %bb.15:
	ds_read2_b64 v[0:3], v6 offset0:2 offset1:145
	ds_read2_b64 v[4:7], v7 offset0:32 offset1:175
	ds_read_b64 v[88:89], v132 offset:5616
.LBB0_16:
	s_or_b64 exec, exec, s[6:7]
	v_add_f64 v[108:109], v[56:57], -v[8:9]
	s_mov_b32 s19, 0xbfddbe06
	s_mov_b32 s18, 0x4267c47c
	v_add_f64 v[56:57], v[10:11], v[58:59]
	v_add_f64 v[114:115], v[52:53], -v[16:17]
	s_mov_b32 s16, 0xe00740e9
	s_mov_b32 s28, 0x66966769
	;; [unrolled: 1-line block ×3, first 2 shown]
	v_mul_f64 v[90:91], v[108:109], s[18:19]
	s_mov_b32 s15, 0xbfea55e2
	s_mov_b32 s14, 0x42a4c3d2
	;; [unrolled: 1-line block ×3, first 2 shown]
	v_mul_f64 v[92:93], v[108:109], s[14:15]
	v_mul_f64 v[94:95], v[108:109], s[28:29]
	v_add_f64 v[52:53], v[18:19], v[54:55]
	v_mul_f64 v[100:101], v[114:115], s[14:15]
	v_fma_f64 v[8:9], v[56:57], s[16:17], v[90:91]
	s_mov_b32 s8, 0x1ea71119
	s_mov_b32 s6, 0xebaa3ed8
	;; [unrolled: 1-line block ×8, first 2 shown]
	v_fma_f64 v[12:13], v[56:57], s[8:9], v[92:93]
	v_fma_f64 v[16:17], v[56:57], s[6:7], v[94:95]
	v_add_f64 v[8:9], v[14:15], v[8:9]
	v_fma_f64 v[60:61], v[52:53], s[8:9], v[100:101]
	v_add_f64 v[126:127], v[48:49], -v[20:21]
	v_mul_f64 v[118:119], v[114:115], s[24:25]
	v_mul_f64 v[120:121], v[114:115], s[34:35]
	s_mov_b32 s22, 0xb2365da1
	s_mov_b32 s30, 0x93053d00
	;; [unrolled: 1-line block ×6, first 2 shown]
	v_add_f64 v[12:13], v[14:15], v[12:13]
	v_add_f64 v[16:17], v[14:15], v[16:17]
	;; [unrolled: 1-line block ×3, first 2 shown]
	v_mul_f64 v[116:117], v[126:127], s[28:29]
	v_add_f64 v[8:9], v[60:61], v[8:9]
	v_fma_f64 v[20:21], v[52:53], s[22:23], v[118:119]
	v_fma_f64 v[60:61], v[52:53], s[30:31], v[120:121]
	v_mul_f64 v[122:123], v[126:127], s[34:35]
	v_mul_f64 v[124:125], v[126:127], s[26:27]
	v_add_f64 v[48:49], v[44:45], -v[24:25]
	s_mov_b32 s42, 0x24c2f84
	s_mov_b32 s43, 0x3fe5384d
	;; [unrolled: 1-line block ×3, first 2 shown]
	v_fma_f64 v[62:63], v[112:113], s[6:7], v[116:117]
	v_add_f64 v[12:13], v[20:21], v[12:13]
	v_add_f64 v[16:17], v[60:61], v[16:17]
	v_fma_f64 v[20:21], v[112:113], s[30:31], v[122:123]
	v_fma_f64 v[24:25], v[112:113], s[22:23], v[124:125]
	v_add_f64 v[44:45], v[26:27], v[46:47]
	v_mul_f64 v[104:105], v[48:49], s[24:25]
	v_mul_f64 v[110:111], v[48:49], s[42:43]
	;; [unrolled: 1-line block ×3, first 2 shown]
	v_add_f64 v[40:41], v[40:41], -v[28:29]
	s_mov_b32 s38, 0xd0032e0c
	s_mov_b32 s39, 0xbfe7f3cc
	;; [unrolled: 1-line block ×6, first 2 shown]
	v_add_f64 v[8:9], v[62:63], v[8:9]
	v_add_f64 v[12:13], v[20:21], v[12:13]
	;; [unrolled: 1-line block ×3, first 2 shown]
	v_fma_f64 v[24:25], v[44:45], s[22:23], v[104:105]
	v_fma_f64 v[60:61], v[44:45], s[38:39], v[110:111]
	;; [unrolled: 1-line block ×3, first 2 shown]
	v_add_f64 v[28:29], v[30:31], v[42:43]
	v_mul_f64 v[96:97], v[40:41], s[40:41]
	v_mul_f64 v[102:103], v[40:41], s[36:37]
	;; [unrolled: 1-line block ×3, first 2 shown]
	v_add_f64 v[16:17], v[36:37], -v[32:33]
	v_add_f64 v[8:9], v[24:25], v[8:9]
	v_add_f64 v[36:37], v[60:61], v[12:13]
	;; [unrolled: 1-line block ×4, first 2 shown]
	v_fma_f64 v[62:63], v[28:29], s[38:39], v[96:97]
	v_fma_f64 v[134:135], v[28:29], s[6:7], v[102:103]
	;; [unrolled: 1-line block ×3, first 2 shown]
	v_mul_f64 v[32:33], v[16:17], s[34:35]
	v_mul_f64 v[20:21], v[16:17], s[18:19]
	;; [unrolled: 1-line block ×3, first 2 shown]
	s_waitcnt lgkmcnt(0)
	s_barrier
	v_add_f64 v[8:9], v[62:63], v[8:9]
	v_add_f64 v[36:37], v[134:135], v[36:37]
	;; [unrolled: 1-line block ×3, first 2 shown]
	v_fma_f64 v[62:63], v[12:13], s[30:31], v[32:33]
	v_fma_f64 v[134:135], v[12:13], s[16:17], v[20:21]
	;; [unrolled: 1-line block ×3, first 2 shown]
	v_add_f64 v[8:9], v[62:63], v[8:9]
	v_add_f64 v[62:63], v[134:135], v[36:37]
	;; [unrolled: 1-line block ×3, first 2 shown]
	s_and_saveexec_b64 s[26:27], s[2:3]
	s_cbranch_execz .LBB0_18
; %bb.17:
	v_add_f64 v[36:37], v[58:59], v[14:15]
	v_mul_f64 v[58:59], v[56:57], s[16:17]
	v_mul_f64 v[134:135], v[56:57], s[8:9]
	;; [unrolled: 1-line block ×7, first 2 shown]
	v_add_f64 v[36:37], v[54:55], v[36:37]
	v_mul_f64 v[142:143], v[52:53], s[30:31]
	v_mul_f64 v[108:109], v[108:109], s[34:35]
	;; [unrolled: 1-line block ×3, first 2 shown]
	v_add_f64 v[58:59], v[58:59], -v[90:91]
	v_add_f64 v[90:91], v[136:137], -v[94:95]
	v_fma_f64 v[94:95], v[56:57], s[22:23], v[164:165]
	v_mul_f64 v[144:145], v[112:113], s[6:7]
	v_add_f64 v[36:37], v[50:51], v[36:37]
	v_mul_f64 v[54:55], v[112:113], s[30:31]
	v_mul_f64 v[146:147], v[112:113], s[22:23]
	;; [unrolled: 1-line block ×5, first 2 shown]
	v_fma_f64 v[136:137], v[56:57], s[38:39], v[166:167]
	v_add_f64 v[58:59], v[14:15], v[58:59]
	v_add_f64 v[36:37], v[46:47], v[36:37]
	v_mul_f64 v[46:47], v[114:115], s[42:43]
	v_mul_f64 v[114:115], v[114:115], s[18:19]
	;; [unrolled: 1-line block ×4, first 2 shown]
	v_add_f64 v[54:55], v[54:55], -v[122:123]
	v_fma_f64 v[122:123], v[112:113], s[16:17], -v[170:171]
	s_mov_b32 s35, 0x3fcea1e5
	v_add_f64 v[36:37], v[42:43], v[36:37]
	v_add_f64 v[42:43], v[134:135], -v[92:93]
	v_fma_f64 v[92:93], v[56:57], s[22:23], -v[164:165]
	v_fma_f64 v[134:135], v[56:57], s[38:39], -v[166:167]
	;; [unrolled: 1-line block ×3, first 2 shown]
	s_mov_b32 s15, 0x3fea55e2
	v_mul_f64 v[152:153], v[44:45], s[16:17]
	v_mul_f64 v[50:51], v[28:29], s[8:9]
	v_add_f64 v[36:37], v[38:39], v[36:37]
	v_fma_f64 v[38:39], v[56:57], s[30:31], v[108:109]
	v_add_f64 v[56:57], v[138:139], -v[100:101]
	v_add_f64 v[100:101], v[140:141], -v[118:119]
	;; [unrolled: 1-line block ×3, first 2 shown]
	v_fma_f64 v[118:119], v[52:53], s[38:39], -v[46:47]
	v_fma_f64 v[46:47], v[52:53], s[38:39], v[46:47]
	v_fma_f64 v[120:121], v[52:53], s[6:7], -v[168:169]
	v_add_f64 v[34:35], v[34:35], v[36:37]
	v_add_f64 v[42:43], v[14:15], v[42:43]
	v_fma_f64 v[36:37], v[52:53], s[6:7], v[168:169]
	v_fma_f64 v[138:139], v[52:53], s[16:17], -v[114:115]
	v_fma_f64 v[52:53], v[52:53], s[16:17], v[114:115]
	v_add_f64 v[114:115], v[144:145], -v[116:117]
	v_add_f64 v[116:117], v[146:147], -v[124:125]
	v_fma_f64 v[124:125], v[112:113], s[8:9], -v[172:173]
	v_add_f64 v[30:31], v[30:31], v[34:35]
	v_fma_f64 v[34:35], v[112:113], s[16:17], v[170:171]
	v_fma_f64 v[140:141], v[112:113], s[8:9], v[172:173]
	v_fma_f64 v[142:143], v[112:113], s[38:39], -v[126:127]
	v_fma_f64 v[112:113], v[112:113], s[38:39], v[126:127]
	v_add_f64 v[126:127], v[14:15], v[136:137]
	v_mul_f64 v[154:155], v[28:29], s[38:39]
	v_mul_f64 v[156:157], v[28:29], s[6:7]
	v_add_f64 v[26:27], v[26:27], v[30:31]
	v_add_f64 v[30:31], v[14:15], v[90:91]
	;; [unrolled: 1-line block ×18, first 2 shown]
	v_add_f64 v[52:53], v[148:149], -v[104:105]
	v_add_f64 v[34:35], v[34:35], v[46:47]
	v_mul_f64 v[46:47], v[48:49], s[28:29]
	v_mul_f64 v[54:55], v[48:49], s[34:35]
	v_mul_f64 v[48:49], v[48:49], s[14:15]
	v_add_f64 v[42:43], v[118:119], v[90:91]
	v_add_f64 v[10:11], v[10:11], v[18:19]
	;; [unrolled: 1-line block ×3, first 2 shown]
	v_add_f64 v[56:57], v[150:151], -v[110:111]
	v_add_f64 v[22:23], v[138:139], v[134:135]
	v_add_f64 v[30:31], v[116:117], v[30:31]
	v_add_f64 v[36:37], v[140:141], v[36:37]
	v_add_f64 v[14:15], v[112:113], v[14:15]
	v_add_f64 v[58:59], v[152:153], -v[106:107]
	v_fma_f64 v[90:91], v[44:45], s[6:7], -v[46:47]
	v_fma_f64 v[46:47], v[44:45], s[6:7], v[46:47]
	v_add_f64 v[26:27], v[52:53], v[26:27]
	v_fma_f64 v[52:53], v[44:45], s[30:31], -v[54:55]
	v_fma_f64 v[54:55], v[44:45], s[30:31], v[54:55]
	v_add_f64 v[38:39], v[56:57], v[38:39]
	;; [unrolled: 3-line block ×3, first 2 shown]
	v_add_f64 v[30:31], v[58:59], v[30:31]
	v_add_f64 v[34:35], v[46:47], v[34:35]
	v_mul_f64 v[46:47], v[40:41], s[34:35]
	v_add_f64 v[36:37], v[54:55], v[36:37]
	v_mul_f64 v[54:55], v[40:41], s[18:19]
	v_mul_f64 v[40:41], v[40:41], s[24:25]
	v_add_f64 v[14:15], v[44:45], v[14:15]
	v_add_f64 v[44:45], v[50:51], -v[98:99]
	v_mul_f64 v[158:159], v[12:13], s[30:31]
	v_add_f64 v[42:43], v[122:123], v[42:43]
	v_add_f64 v[18:19], v[52:53], v[18:19]
	;; [unrolled: 1-line block ×3, first 2 shown]
	v_add_f64 v[48:49], v[154:155], -v[96:97]
	v_add_f64 v[52:53], v[156:157], -v[102:103]
	v_mul_f64 v[160:161], v[12:13], s[16:17]
	v_add_f64 v[30:31], v[44:45], v[30:31]
	v_fma_f64 v[44:45], v[28:29], s[22:23], -v[40:41]
	v_mul_f64 v[162:163], v[12:13], s[38:39]
	v_add_f64 v[42:43], v[90:91], v[42:43]
	v_fma_f64 v[50:51], v[28:29], s[30:31], -v[46:47]
	v_fma_f64 v[46:47], v[28:29], s[30:31], v[46:47]
	v_add_f64 v[26:27], v[48:49], v[26:27]
	v_add_f64 v[38:39], v[52:53], v[38:39]
	v_fma_f64 v[48:49], v[28:29], s[16:17], -v[54:55]
	v_fma_f64 v[52:53], v[28:29], s[16:17], v[54:55]
	v_fma_f64 v[28:29], v[28:29], s[22:23], v[40:41]
	v_add_f64 v[32:33], v[158:159], -v[32:33]
	v_mul_f64 v[40:41], v[16:17], s[14:15]
	v_add_f64 v[22:23], v[44:45], v[22:23]
	v_mul_f64 v[44:45], v[16:17], s[24:25]
	v_mul_f64 v[16:17], v[16:17], s[36:37]
	v_add_f64 v[20:21], v[160:161], -v[20:21]
	v_add_f64 v[24:25], v[162:163], -v[24:25]
	v_add_f64 v[42:43], v[50:51], v[42:43]
	v_add_f64 v[18:19], v[48:49], v[18:19]
	;; [unrolled: 1-line block ×4, first 2 shown]
	v_fma_f64 v[28:29], v[12:13], s[8:9], -v[40:41]
	v_fma_f64 v[32:33], v[12:13], s[8:9], v[40:41]
	v_fma_f64 v[40:41], v[12:13], s[22:23], -v[44:45]
	v_add_f64 v[34:35], v[46:47], v[34:35]
	v_fma_f64 v[46:47], v[12:13], s[6:7], -v[16:17]
	v_fma_f64 v[16:17], v[12:13], s[6:7], v[16:17]
	v_add_f64 v[36:37], v[52:53], v[36:37]
	v_fma_f64 v[12:13], v[12:13], s[22:23], v[44:45]
	v_add_f64 v[20:21], v[20:21], v[38:39]
	v_add_f64 v[24:25], v[24:25], v[30:31]
	;; [unrolled: 1-line block ×8, first 2 shown]
	v_mul_u32_u24_e32 v16, 0x60, v129
	v_add3_u32 v16, v133, v16, v130
	ds_write2_b64 v16, v[10:11], v[26:27] offset1:1
	ds_write2_b64 v16, v[20:21], v[24:25] offset0:2 offset1:3
	ds_write2_b64 v16, v[28:29], v[18:19] offset0:4 offset1:5
	ds_write2_b64 v16, v[22:23], v[14:15] offset0:6 offset1:7
	ds_write2_b64 v16, v[12:13], v[30:31] offset0:8 offset1:9
	ds_write2_b64 v16, v[60:61], v[62:63] offset0:10 offset1:11
	ds_write_b64 v16, v[8:9] offset:96
.LBB0_18:
	s_or_b64 exec, exec, s[26:27]
	v_add_u32_e32 v11, 0x800, v132
	s_waitcnt lgkmcnt(0)
	s_barrier
	v_add_u32_e32 v10, 0x400, v132
	ds_read2_b64 v[20:23], v11 offset0:95 offset1:173
	v_add_u32_e32 v11, 0xc00, v132
	ds_read2_b64 v[12:15], v132 offset0:65 offset1:143
	ds_read2_b64 v[16:19], v10 offset0:80 offset1:158
	;; [unrolled: 1-line block ×3, first 2 shown]
	ds_read_b64 v[28:29], v131
	ds_read_b64 v[30:31], v132 offset:5096
                                        ; implicit-def: $vgpr40_vgpr41
	s_and_saveexec_b64 s[2:3], s[0:1]
	s_cbranch_execz .LBB0_20
; %bb.19:
	ds_read2_b64 v[60:63], v10 offset0:2 offset1:145
	ds_read2_b64 v[8:11], v11 offset0:32 offset1:175
	ds_read_b64 v[40:41], v132 offset:5616
.LBB0_20:
	s_or_b64 exec, exec, s[2:3]
	s_movk_i32 s2, 0x4f
	v_mul_lo_u16_sdwa v32, v129, s2 dst_sel:DWORD dst_unused:UNUSED_PAD src0_sel:BYTE_0 src1_sel:DWORD
	v_lshrrev_b16_e32 v127, 10, v32
	v_mul_lo_u16_e32 v32, 13, v127
	v_sub_u16_e32 v147, v129, v32
	v_mov_b32_e32 v50, 6
	v_lshlrev_b32_sdwa v51, v50, v147 dst_sel:DWORD dst_unused:UNUSED_PAD src0_sel:DWORD src1_sel:BYTE_0
	global_load_dwordx4 v[32:35], v51, s[12:13] offset:48
	global_load_dwordx4 v[36:39], v51, s[12:13] offset:32
	;; [unrolled: 1-line block ×3, first 2 shown]
	global_load_dwordx4 v[46:49], v51, s[12:13]
	v_add_u16_e32 v51, 0x41, v129
	v_mul_lo_u16_sdwa v52, v51, s2 dst_sel:DWORD dst_unused:UNUSED_PAD src0_sel:BYTE_0 src1_sel:DWORD
	v_lshrrev_b16_e32 v148, 10, v52
	v_mul_lo_u16_e32 v52, 13, v148
	v_sub_u16_e32 v149, v51, v52
	v_lshlrev_b32_sdwa v51, v50, v149 dst_sel:DWORD dst_unused:UNUSED_PAD src0_sel:DWORD src1_sel:BYTE_0
	global_load_dwordx4 v[52:55], v51, s[12:13] offset:16
	global_load_dwordx4 v[91:94], v51, s[12:13]
	global_load_dwordx4 v[95:98], v51, s[12:13] offset:48
	global_load_dwordx4 v[99:102], v51, s[12:13] offset:32
	v_add_u16_e32 v51, 0x82, v129
	v_mul_lo_u16_sdwa v56, v51, s2 dst_sel:DWORD dst_unused:UNUSED_PAD src0_sel:BYTE_0 src1_sel:DWORD
	v_lshrrev_b16_e32 v56, 10, v56
	v_mul_lo_u16_e32 v56, 13, v56
	v_sub_u16_e32 v90, v51, v56
	v_lshlrev_b32_sdwa v50, v50, v90 dst_sel:DWORD dst_unused:UNUSED_PAD src0_sel:DWORD src1_sel:BYTE_0
	global_load_dwordx4 v[103:106], v50, s[12:13]
	global_load_dwordx4 v[107:110], v50, s[12:13] offset:16
	global_load_dwordx4 v[111:114], v50, s[12:13] offset:32
	;; [unrolled: 1-line block ×3, first 2 shown]
	s_mov_b32 s8, 0x134454ff
	s_mov_b32 s9, 0xbfee6f0e
	s_mov_b32 s17, 0x3fee6f0e
	s_mov_b32 s16, s8
	s_mov_b32 s2, 0x4755a5e
	s_mov_b32 s3, 0xbfe2cf23
	s_mov_b32 s15, 0x3fe2cf23
	s_mov_b32 s14, s2
	s_mov_b32 s6, 0x372fe950
	s_mov_b32 s7, 0x3fd3c6ef
	s_movk_i32 s18, 0x208
	s_waitcnt vmcnt(0) lgkmcnt(0)
	s_barrier
	v_mul_f64 v[123:124], v[26:27], v[34:35]
	v_mul_f64 v[121:122], v[22:23], v[38:39]
	;; [unrolled: 1-line block ×12, first 2 shown]
	v_fma_f64 v[58:59], v[66:67], v[46:47], v[50:51]
	v_fma_f64 v[66:67], v[70:71], v[42:43], v[119:120]
	;; [unrolled: 1-line block ×3, first 2 shown]
	v_mul_f64 v[141:142], v[8:9], v[109:110]
	v_mul_f64 v[38:39], v[74:75], v[38:39]
	;; [unrolled: 1-line block ×10, first 2 shown]
	v_fma_f64 v[74:75], v[78:79], v[32:33], v[123:124]
	v_mul_f64 v[97:98], v[86:87], v[97:98]
	v_fma_f64 v[56:57], v[14:15], v[46:47], -v[48:49]
	v_fma_f64 v[48:49], v[72:73], v[52:53], v[133:134]
	v_fma_f64 v[20:21], v[20:21], v[52:53], -v[54:55]
	v_fma_f64 v[52:53], v[76:77], v[99:100], v[135:136]
	v_fma_f64 v[50:51], v[68:69], v[91:92], v[125:126]
	;; [unrolled: 1-line block ×3, first 2 shown]
	v_mul_f64 v[109:110], v[4:5], v[109:110]
	v_fma_f64 v[46:47], v[18:19], v[42:43], -v[44:45]
	v_fma_f64 v[42:43], v[26:27], v[32:33], -v[34:35]
	v_fma_f64 v[32:33], v[4:5], v[107:108], v[141:142]
	v_add_f64 v[4:5], v[66:67], v[70:71]
	v_fma_f64 v[44:45], v[22:23], v[36:37], -v[38:39]
	v_fma_f64 v[18:19], v[16:17], v[91:92], -v[93:94]
	;; [unrolled: 1-line block ×3, first 2 shown]
	v_fma_f64 v[36:37], v[2:3], v[103:104], v[139:140]
	v_fma_f64 v[26:27], v[62:63], v[103:104], -v[105:106]
	v_fma_f64 v[24:25], v[10:11], v[111:112], -v[113:114]
	;; [unrolled: 1-line block ×3, first 2 shown]
	v_add_f64 v[2:3], v[84:85], v[58:59]
	v_add_f64 v[10:11], v[58:59], -v[66:67]
	v_add_f64 v[40:41], v[74:75], -v[70:71]
	v_add_f64 v[62:63], v[58:59], v[74:75]
	v_fma_f64 v[14:15], v[30:31], v[95:96], -v[97:98]
	v_add_f64 v[68:69], v[66:67], -v[58:59]
	v_add_f64 v[72:73], v[70:71], -v[74:75]
	v_add_f64 v[78:79], v[48:49], v[52:53]
	v_add_f64 v[95:96], v[50:51], v[54:55]
	v_fma_f64 v[34:35], v[6:7], v[111:112], v[143:144]
	v_add_f64 v[6:7], v[56:57], -v[42:43]
	v_fma_f64 v[4:5], v[4:5], -0.5, v[84:85]
	v_fma_f64 v[30:31], v[8:9], v[107:108], -v[109:110]
	v_add_f64 v[8:9], v[46:47], -v[44:45]
	v_add_f64 v[2:3], v[2:3], v[66:67]
	v_add_f64 v[10:11], v[10:11], v[40:41]
	v_fma_f64 v[40:41], v[62:63], -0.5, v[84:85]
	v_add_f64 v[76:77], v[64:65], v[50:51]
	v_add_f64 v[86:87], v[18:19], -v[14:15]
	v_add_f64 v[91:92], v[50:51], -v[48:49]
	;; [unrolled: 1-line block ×3, first 2 shown]
	v_add_f64 v[62:63], v[68:69], v[72:73]
	v_fma_f64 v[72:73], v[78:79], -0.5, v[64:65]
	v_fma_f64 v[38:39], v[88:89], v[115:116], v[145:146]
	v_add_f64 v[88:89], v[20:21], -v[16:17]
	v_fma_f64 v[64:65], v[95:96], -0.5, v[64:65]
	v_fma_f64 v[78:79], v[6:7], s[8:9], v[4:5]
	v_add_f64 v[2:3], v[2:3], v[70:71]
	v_fma_f64 v[4:5], v[6:7], s[16:17], v[4:5]
	v_fma_f64 v[84:85], v[8:9], s[16:17], v[40:41]
	;; [unrolled: 1-line block ×3, first 2 shown]
	v_add_f64 v[68:69], v[76:77], v[48:49]
	v_add_f64 v[76:77], v[91:92], v[93:94]
	v_fma_f64 v[91:92], v[86:87], s[8:9], v[72:73]
	v_add_f64 v[97:98], v[48:49], -v[50:51]
	v_add_f64 v[99:100], v[52:53], -v[54:55]
	v_fma_f64 v[72:73], v[86:87], s[16:17], v[72:73]
	v_fma_f64 v[93:94], v[88:89], s[16:17], v[64:65]
	;; [unrolled: 1-line block ×4, first 2 shown]
	v_add_f64 v[95:96], v[2:3], v[74:75]
	v_fma_f64 v[2:3], v[8:9], s[14:15], v[4:5]
	v_fma_f64 v[4:5], v[6:7], s[2:3], v[84:85]
	v_fma_f64 v[6:7], v[6:7], s[14:15], v[40:41]
	v_add_f64 v[68:69], v[68:69], v[52:53]
	v_fma_f64 v[8:9], v[88:89], s[2:3], v[91:92]
	v_fma_f64 v[40:41], v[88:89], s[14:15], v[72:73]
	v_fma_f64 v[72:73], v[86:87], s[2:3], v[93:94]
	;; [unrolled: 4-line block ×3, first 2 shown]
	v_fma_f64 v[3:4], v[62:63], s[6:7], v[4:5]
	v_fma_f64 v[5:6], v[62:63], s[6:7], v[6:7]
	v_add_f64 v[62:63], v[68:69], v[54:55]
	v_fma_f64 v[7:8], v[76:77], s[6:7], v[8:9]
	v_fma_f64 v[72:73], v[84:85], s[6:7], v[72:73]
	;; [unrolled: 1-line block ×4, first 2 shown]
	v_mov_b32_e32 v2, 3
	v_mad_u32_u24 v9, v127, s18, 0
	v_lshlrev_b32_sdwa v40, v2, v147 dst_sel:DWORD dst_unused:UNUSED_PAD src0_sel:DWORD src1_sel:BYTE_0
	v_add3_u32 v40, v9, v40, v130
	ds_write2_b64 v40, v[95:96], v[78:79] offset1:13
	ds_write2_b64 v40, v[3:4], v[5:6] offset0:26 offset1:39
	ds_write_b64 v40, v[10:11] offset:416
	v_mad_u32_u24 v3, v148, s18, 0
	v_lshlrev_b32_sdwa v4, v2, v149 dst_sel:DWORD dst_unused:UNUSED_PAD src0_sel:DWORD src1_sel:BYTE_0
	v_add3_u32 v41, v3, v4, v130
	ds_write2_b64 v41, v[62:63], v[7:8] offset1:13
	ds_write2_b64 v41, v[72:73], v[64:65] offset0:26 offset1:39
	ds_write_b64 v41, v[68:69] offset:416
	s_and_saveexec_b64 s[18:19], s[0:1]
	s_cbranch_execz .LBB0_22
; %bb.21:
	v_add_f64 v[3:4], v[36:37], v[38:39]
	v_add_f64 v[5:6], v[32:33], v[34:35]
	v_add_f64 v[7:8], v[26:27], -v[22:23]
	v_add_f64 v[62:63], v[0:1], v[36:37]
	v_add_f64 v[9:10], v[30:31], -v[24:25]
	v_add_f64 v[64:65], v[34:35], -v[38:39]
	v_add_f64 v[68:69], v[36:37], -v[32:33]
	v_add_f64 v[72:73], v[38:39], -v[34:35]
	v_fma_f64 v[3:4], v[3:4], -0.5, v[0:1]
	v_fma_f64 v[0:1], v[5:6], -0.5, v[0:1]
	v_add_f64 v[5:6], v[32:33], -v[36:37]
	v_add_f64 v[62:63], v[62:63], v[32:33]
	v_lshlrev_b32_sdwa v2, v2, v90 dst_sel:DWORD dst_unused:UNUSED_PAD src0_sel:DWORD src1_sel:BYTE_0
	v_add3_u32 v2, 0, v2, v130
	v_fma_f64 v[76:77], v[9:10], s[8:9], v[3:4]
	v_fma_f64 v[78:79], v[7:8], s[8:9], v[0:1]
	;; [unrolled: 1-line block ×4, first 2 shown]
	v_add_f64 v[5:6], v[5:6], v[64:65]
	v_add_f64 v[64:65], v[68:69], v[72:73]
	;; [unrolled: 1-line block ×3, first 2 shown]
	v_fma_f64 v[68:69], v[7:8], s[14:15], v[76:77]
	v_fma_f64 v[72:73], v[9:10], s[2:3], v[78:79]
	v_fma_f64 v[3:4], v[7:8], s[2:3], v[3:4]
	v_fma_f64 v[0:1], v[9:10], s[14:15], v[0:1]
	v_add_f64 v[7:8], v[62:63], v[38:39]
	v_fma_f64 v[9:10], v[5:6], s[6:7], v[68:69]
	v_fma_f64 v[62:63], v[64:65], s[6:7], v[72:73]
	;; [unrolled: 1-line block ×4, first 2 shown]
	v_add_u32_e32 v5, 0x1000, v2
	ds_write2_b64 v5, v[7:8], v[62:63] offset0:138 offset1:151
	ds_write2_b64 v5, v[3:4], v[9:10] offset0:164 offset1:177
	ds_write_b64 v2, v[0:1] offset:5616
.LBB0_22:
	s_or_b64 exec, exec, s[18:19]
	v_add_f64 v[0:1], v[46:47], v[44:45]
	v_add_f64 v[2:3], v[28:29], v[56:57]
	v_add_f64 v[4:5], v[58:59], -v[74:75]
	v_add_f64 v[58:59], v[56:57], v[42:43]
	v_add_f64 v[6:7], v[66:67], -v[70:71]
	v_add_f64 v[8:9], v[56:57], -v[46:47]
	v_add_f64 v[10:11], v[42:43], -v[44:45]
	v_add_f64 v[56:57], v[46:47], -v[56:57]
	v_fma_f64 v[0:1], v[0:1], -0.5, v[28:29]
	v_add_f64 v[66:67], v[20:21], v[16:17]
	v_add_f64 v[2:3], v[2:3], v[46:47]
	v_add_f64 v[46:47], v[48:49], -v[52:53]
	v_fma_f64 v[28:29], v[58:59], -0.5, v[28:29]
	v_add_f64 v[52:53], v[18:19], v[14:15]
	v_add_f64 v[62:63], v[44:45], -v[42:43]
	v_add_f64 v[64:65], v[12:13], v[18:19]
	v_fma_f64 v[48:49], v[4:5], s[16:17], v[0:1]
	v_add_f64 v[50:51], v[50:51], -v[54:55]
	v_add_f64 v[8:9], v[8:9], v[10:11]
	v_fma_f64 v[54:55], v[66:67], -0.5, v[12:13]
	v_add_f64 v[2:3], v[2:3], v[44:45]
	v_fma_f64 v[0:1], v[4:5], s[8:9], v[0:1]
	v_fma_f64 v[44:45], v[6:7], s[8:9], v[28:29]
	v_fma_f64 v[12:13], v[52:53], -0.5, v[12:13]
	v_fma_f64 v[48:49], v[6:7], s[14:15], v[48:49]
	v_fma_f64 v[28:29], v[6:7], s[16:17], v[28:29]
	v_add_f64 v[10:11], v[56:57], v[62:63]
	v_add_f64 v[56:57], v[64:65], v[20:21]
	;; [unrolled: 1-line block ×3, first 2 shown]
	v_fma_f64 v[0:1], v[6:7], s[2:3], v[0:1]
	v_fma_f64 v[2:3], v[4:5], s[14:15], v[44:45]
	v_add_f64 v[6:7], v[18:19], -v[20:21]
	v_fma_f64 v[44:45], v[8:9], s[6:7], v[48:49]
	v_add_f64 v[48:49], v[14:15], -v[16:17]
	;; [unrolled: 2-line block ×3, first 2 shown]
	v_add_f64 v[20:21], v[16:17], -v[14:15]
	v_fma_f64 v[12:13], v[46:47], s[16:17], v[12:13]
	v_fma_f64 v[52:53], v[50:51], s[16:17], v[54:55]
	;; [unrolled: 1-line block ×4, first 2 shown]
	v_add_f64 v[16:17], v[56:57], v[16:17]
	v_add_f64 v[6:7], v[6:7], v[48:49]
	v_fma_f64 v[48:49], v[50:51], s[14:15], v[58:59]
	v_add_f64 v[18:19], v[18:19], v[20:21]
	v_fma_f64 v[12:13], v[50:51], s[2:3], v[12:13]
	v_fma_f64 v[28:29], v[46:47], s[14:15], v[52:53]
	;; [unrolled: 1-line block ×4, first 2 shown]
	v_add_u32_e32 v4, 0x400, v132
	v_fma_f64 v[50:51], v[8:9], s[6:7], v[0:1]
	v_fma_f64 v[52:53], v[10:11], s[6:7], v[2:3]
	s_waitcnt lgkmcnt(0)
	s_barrier
	ds_read_b64 v[20:21], v131
	ds_read2_b64 v[0:3], v132 offset0:65 offset1:130
	ds_read2_b64 v[8:11], v4 offset0:67 offset1:132
	v_add_u32_e32 v4, 0x800, v132
	v_add_f64 v[56:57], v[16:17], v[14:15]
	v_fma_f64 v[48:49], v[18:19], s[6:7], v[48:49]
	v_fma_f64 v[58:59], v[18:19], s[6:7], v[12:13]
	ds_read2_b64 v[16:19], v4 offset0:69 offset1:134
	v_add_u32_e32 v4, 0xc00, v132
	ds_read2_b64 v[12:15], v4 offset0:71 offset1:136
	v_add_u32_e32 v4, 0x1000, v132
	v_fma_f64 v[28:29], v[6:7], s[6:7], v[28:29]
	v_fma_f64 v[46:47], v[6:7], s[6:7], v[46:47]
	ds_read2_b64 v[4:7], v4 offset0:73 offset1:138
	s_waitcnt lgkmcnt(0)
	s_barrier
	ds_write2_b64 v40, v[42:43], v[44:45] offset1:13
	ds_write2_b64 v40, v[52:53], v[54:55] offset0:26 offset1:39
	ds_write_b64 v40, v[50:51] offset:416
	ds_write2_b64 v41, v[56:57], v[28:29] offset1:13
	ds_write2_b64 v41, v[48:49], v[58:59] offset0:26 offset1:39
	ds_write_b64 v41, v[46:47] offset:416
	s_and_saveexec_b64 s[2:3], s[0:1]
	s_cbranch_execz .LBB0_24
; %bb.23:
	v_add_f64 v[28:29], v[30:31], v[24:25]
	v_add_f64 v[36:37], v[36:37], -v[38:39]
	v_add_f64 v[38:39], v[26:27], v[22:23]
	v_add_f64 v[40:41], v[60:61], v[26:27]
	v_add_f64 v[32:33], v[32:33], -v[34:35]
	s_mov_b32 s0, 0x134454ff
	s_mov_b32 s1, 0x3fee6f0e
	v_add_f64 v[34:35], v[26:27], -v[30:31]
	v_fma_f64 v[28:29], v[28:29], -0.5, v[60:61]
	v_add_f64 v[42:43], v[22:23], -v[24:25]
	v_fma_f64 v[38:39], v[38:39], -0.5, v[60:61]
	s_mov_b32 s9, 0xbfee6f0e
	v_add_f64 v[26:27], v[30:31], -v[26:27]
	v_add_f64 v[30:31], v[40:41], v[30:31]
	s_mov_b32 s8, s0
	v_add_f64 v[44:45], v[24:25], -v[22:23]
	v_fma_f64 v[40:41], v[36:37], s[0:1], v[28:29]
	v_fma_f64 v[28:29], v[36:37], s[8:9], v[28:29]
	;; [unrolled: 1-line block ×4, first 2 shown]
	s_mov_b32 s6, 0x4755a5e
	s_mov_b32 s7, 0x3fe2cf23
	v_add_f64 v[34:35], v[34:35], v[42:43]
	v_add_f64 v[24:25], v[30:31], v[24:25]
	v_fma_f64 v[30:31], v[32:33], s[6:7], v[40:41]
	s_mov_b32 s1, 0xbfe2cf23
	s_mov_b32 s0, s6
	v_fma_f64 v[40:41], v[36:37], s[6:7], v[46:47]
	v_add_f64 v[26:27], v[26:27], v[44:45]
	v_fma_f64 v[36:37], v[36:37], s[0:1], v[38:39]
	v_fma_f64 v[28:29], v[32:33], s[0:1], v[28:29]
	s_mov_b32 s0, 0x372fe950
	s_mov_b32 s1, 0x3fd3c6ef
	v_add_f64 v[22:23], v[24:25], v[22:23]
	v_fma_f64 v[24:25], v[34:35], s[0:1], v[30:31]
	v_mov_b32_e32 v32, 3
	v_fma_f64 v[30:31], v[26:27], s[0:1], v[40:41]
	v_fma_f64 v[26:27], v[26:27], s[0:1], v[36:37]
	v_fma_f64 v[28:29], v[34:35], s[0:1], v[28:29]
	v_lshlrev_b32_sdwa v32, v32, v90 dst_sel:DWORD dst_unused:UNUSED_PAD src0_sel:DWORD src1_sel:BYTE_0
	v_add3_u32 v32, 0, v32, v130
	v_add_u32_e32 v33, 0x1000, v32
	ds_write2_b64 v33, v[22:23], v[24:25] offset0:138 offset1:151
	ds_write2_b64 v33, v[30:31], v[26:27] offset0:164 offset1:177
	ds_write_b64 v32, v[28:29] offset:5616
.LBB0_24:
	s_or_b64 exec, exec, s[2:3]
	s_waitcnt lgkmcnt(0)
	s_barrier
	s_and_saveexec_b64 s[0:1], vcc
	s_cbranch_execz .LBB0_26
; %bb.25:
	v_mul_u32_u24_e32 v22, 10, v129
	v_lshlrev_b32_e32 v22, 4, v22
	global_load_dwordx4 v[26:29], v22, s[12:13] offset:896
	global_load_dwordx4 v[30:33], v22, s[12:13] offset:912
	;; [unrolled: 1-line block ×10, first 2 shown]
	v_mul_lo_u32 v78, s5, v82
	v_mad_u64_u32 v[22:23], s[0:1], s4, v82, 0
	v_add_u32_e32 v70, 0x800, v132
	v_add_u32_e32 v74, 0x400, v132
	;; [unrolled: 1-line block ×4, first 2 shown]
	v_mul_lo_u32 v79, s4, v83
	ds_read2_b64 v[66:69], v132 offset0:65 offset1:130
	ds_read_b64 v[24:25], v131
	ds_read2_b64 v[70:73], v70 offset0:69 offset1:134
	ds_read2_b64 v[74:77], v74 offset0:67 offset1:132
	;; [unrolled: 1-line block ×4, first 2 shown]
	v_add3_u32 v23, v23, v79, v78
	s_mov_b32 s18, 0xfd768dbf
	s_mov_b32 s19, 0xbfd207e7
	;; [unrolled: 1-line block ×26, first 2 shown]
	s_waitcnt vmcnt(9)
	v_mul_f64 v[78:79], v[16:17], v[26:27]
	s_waitcnt vmcnt(8)
	v_mul_f64 v[90:91], v[18:19], v[30:31]
	v_mul_f64 v[18:19], v[18:19], v[32:33]
	s_waitcnt vmcnt(7)
	v_mul_f64 v[92:93], v[10:11], v[34:35]
	s_waitcnt vmcnt(6)
	v_mul_f64 v[94:95], v[12:13], v[38:39]
	v_mul_f64 v[12:13], v[12:13], v[40:41]
	s_waitcnt vmcnt(4)
	v_mul_f64 v[98:99], v[14:15], v[46:47]
	;; [unrolled: 3-line block ×3, first 2 shown]
	s_waitcnt vmcnt(0)
	v_mul_f64 v[106:107], v[6:7], v[62:63]
	v_mul_f64 v[96:97], v[8:9], v[42:43]
	;; [unrolled: 1-line block ×8, first 2 shown]
	s_waitcnt lgkmcnt(3)
	v_fma_f64 v[90:91], v[72:73], v[32:33], v[90:91]
	v_fma_f64 v[18:19], v[72:73], v[30:31], -v[18:19]
	s_waitcnt lgkmcnt(2)
	v_fma_f64 v[72:73], v[76:77], v[36:37], v[92:93]
	s_waitcnt lgkmcnt(1)
	v_fma_f64 v[92:93], v[82:83], v[40:41], v[94:95]
	v_fma_f64 v[82:83], v[82:83], v[38:39], -v[12:13]
	v_fma_f64 v[94:95], v[84:85], v[48:49], v[98:99]
	v_fma_f64 v[48:49], v[66:67], v[60:61], v[104:105]
	s_waitcnt lgkmcnt(0)
	v_fma_f64 v[12:13], v[88:89], v[64:65], v[106:107]
	v_mul_f64 v[2:3], v[2:3], v[52:53]
	v_mul_f64 v[4:5], v[4:5], v[56:57]
	v_fma_f64 v[78:79], v[70:71], v[28:29], v[78:79]
	v_fma_f64 v[70:71], v[70:71], v[26:27], -v[16:17]
	v_fma_f64 v[44:45], v[74:75], v[44:45], v[96:97]
	v_fma_f64 v[38:39], v[74:75], v[42:43], -v[8:9]
	v_fma_f64 v[46:47], v[84:85], v[46:47], -v[14:15]
	v_fma_f64 v[40:41], v[68:69], v[52:53], v[100:101]
	v_fma_f64 v[14:15], v[86:87], v[56:57], v[102:103]
	v_fma_f64 v[52:53], v[66:67], v[58:59], -v[0:1]
	v_fma_f64 v[16:17], v[88:89], v[62:63], -v[6:7]
	v_add_f64 v[74:75], v[48:49], -v[12:13]
	v_mul_f64 v[10:11], v[10:11], v[36:37]
	v_fma_f64 v[42:43], v[68:69], v[50:51], -v[2:3]
	v_fma_f64 v[50:51], v[86:87], v[54:55], -v[4:5]
	v_add_f64 v[62:63], v[44:45], -v[94:95]
	v_add_f64 v[66:67], v[40:41], -v[14:15]
	v_add_f64 v[110:111], v[48:49], v[12:13]
	v_add_f64 v[84:85], v[52:53], v[16:17]
	v_add_f64 v[102:103], v[52:53], -v[16:17]
	v_mul_f64 v[0:1], v[74:75], s[18:19]
	v_fma_f64 v[76:77], v[76:77], v[34:35], -v[10:11]
	v_add_f64 v[68:69], v[42:43], v[50:51]
	v_add_f64 v[108:109], v[42:43], -v[50:51]
	v_mul_f64 v[4:5], v[66:67], s[22:23]
	v_add_f64 v[58:59], v[72:73], -v[92:93]
	v_add_f64 v[64:65], v[38:39], v[46:47]
	v_mul_f64 v[6:7], v[102:103], s[18:19]
	v_fma_f64 v[10:11], v[84:85], s[14:15], v[0:1]
	v_add_f64 v[104:105], v[38:39], -v[46:47]
	v_add_f64 v[106:107], v[40:41], v[14:15]
	v_mul_f64 v[26:27], v[62:63], s[8:9]
	v_mul_f64 v[32:33], v[108:109], s[22:23]
	v_fma_f64 v[34:35], v[68:69], s[16:17], v[4:5]
	v_fma_f64 v[0:1], v[84:85], s[14:15], -v[0:1]
	v_fma_f64 v[36:37], v[110:111], s[14:15], -v[6:7]
	v_add_f64 v[10:11], v[24:25], v[10:11]
	v_add_f64 v[54:55], v[78:79], -v[90:91]
	v_add_f64 v[60:61], v[76:77], v[82:83]
	v_add_f64 v[98:99], v[76:77], -v[82:83]
	v_add_f64 v[100:101], v[44:45], v[94:95]
	v_mul_f64 v[8:9], v[58:59], s[12:13]
	v_mul_f64 v[112:113], v[104:105], s[8:9]
	v_fma_f64 v[116:117], v[64:65], s[0:1], v[26:27]
	v_fma_f64 v[118:119], v[106:107], s[16:17], -v[32:33]
	v_fma_f64 v[4:5], v[68:69], s[16:17], -v[4:5]
	v_add_f64 v[36:37], v[20:21], v[36:37]
	v_add_f64 v[0:1], v[24:25], v[0:1]
	;; [unrolled: 1-line block ×5, first 2 shown]
	v_mul_f64 v[2:3], v[54:55], s[6:7]
	v_mul_f64 v[30:31], v[98:99], s[12:13]
	v_mul_f64 v[34:35], v[74:75], s[8:9]
	v_fma_f64 v[122:123], v[60:61], s[4:5], v[8:9]
	v_fma_f64 v[124:125], v[100:101], s[0:1], -v[112:113]
	v_fma_f64 v[26:27], v[64:65], s[0:1], -v[26:27]
	v_add_f64 v[36:37], v[118:119], v[36:37]
	v_add_f64 v[0:1], v[4:5], v[0:1]
	;; [unrolled: 1-line block ×3, first 2 shown]
	v_mul_f64 v[114:115], v[66:67], s[26:27]
	v_mul_f64 v[120:121], v[102:103], s[8:9]
	v_fma_f64 v[10:11], v[56:57], s[2:3], v[2:3]
	v_fma_f64 v[118:119], v[96:97], s[4:5], -v[30:31]
	v_fma_f64 v[8:9], v[60:61], s[4:5], -v[8:9]
	v_fma_f64 v[6:7], v[110:111], s[14:15], v[6:7]
	v_add_f64 v[36:37], v[124:125], v[36:37]
	v_add_f64 v[0:1], v[26:27], v[0:1]
	;; [unrolled: 1-line block ×3, first 2 shown]
	v_fma_f64 v[122:123], v[84:85], s[0:1], v[34:35]
	v_fma_f64 v[26:27], v[56:57], s[2:3], -v[2:3]
	v_fma_f64 v[32:33], v[106:107], s[16:17], v[32:33]
	v_add_f64 v[88:89], v[70:71], -v[18:19]
	v_add_f64 v[6:7], v[20:21], v[6:7]
	v_add_f64 v[36:37], v[118:119], v[36:37]
	;; [unrolled: 1-line block ×4, first 2 shown]
	v_mul_f64 v[118:119], v[108:109], s[26:27]
	v_fma_f64 v[0:1], v[110:111], s[0:1], -v[120:121]
	v_mul_f64 v[4:5], v[62:63], s[24:25]
	v_fma_f64 v[10:11], v[68:69], s[2:3], v[114:115]
	v_add_f64 v[122:123], v[24:25], v[122:123]
	v_fma_f64 v[112:113], v[100:101], s[0:1], v[112:113]
	v_mul_f64 v[124:125], v[104:105], s[24:25]
	v_add_f64 v[6:7], v[32:33], v[6:7]
	v_fma_f64 v[126:127], v[106:107], s[2:3], -v[118:119]
	v_add_f64 v[0:1], v[20:21], v[0:1]
	v_mul_f64 v[32:33], v[58:59], s[18:19]
	v_fma_f64 v[129:130], v[64:65], s[16:17], v[4:5]
	v_add_f64 v[10:11], v[10:11], v[122:123]
	v_add_f64 v[86:87], v[78:79], v[90:91]
	v_mul_f64 v[28:29], v[88:89], s[6:7]
	v_fma_f64 v[30:31], v[96:97], s[4:5], v[30:31]
	v_mul_f64 v[122:123], v[98:99], s[18:19]
	v_fma_f64 v[131:132], v[100:101], s[16:17], -v[124:125]
	v_add_f64 v[0:1], v[126:127], v[0:1]
	v_add_f64 v[6:7], v[112:113], v[6:7]
	v_mul_f64 v[112:113], v[54:55], s[12:13]
	v_fma_f64 v[34:35], v[84:85], s[0:1], -v[34:35]
	v_fma_f64 v[126:127], v[60:61], s[14:15], v[32:33]
	v_add_f64 v[10:11], v[129:130], v[10:11]
	v_fma_f64 v[116:117], v[86:87], s[2:3], -v[28:29]
	v_fma_f64 v[133:134], v[96:97], s[14:15], -v[122:123]
	v_add_f64 v[0:1], v[131:132], v[0:1]
	v_fma_f64 v[28:29], v[86:87], s[2:3], v[28:29]
	v_fma_f64 v[114:115], v[68:69], s[2:3], -v[114:115]
	v_add_f64 v[34:35], v[24:25], v[34:35]
	v_add_f64 v[6:7], v[30:31], v[6:7]
	v_fma_f64 v[30:31], v[56:57], s[4:5], v[112:113]
	v_add_f64 v[126:127], v[126:127], v[10:11]
	v_add_f64 v[10:11], v[26:27], v[8:9]
	;; [unrolled: 1-line block ×4, first 2 shown]
	v_fma_f64 v[36:37], v[64:65], s[16:17], -v[4:5]
	v_add_f64 v[34:35], v[114:115], v[34:35]
	v_fma_f64 v[26:27], v[110:111], s[0:1], v[120:121]
	v_add_f64 v[8:9], v[28:29], v[6:7]
	v_add_f64 v[6:7], v[30:31], v[126:127]
	v_mul_f64 v[30:31], v[74:75], s[6:7]
	v_mul_f64 v[129:130], v[88:89], s[12:13]
	v_fma_f64 v[28:29], v[60:61], s[14:15], -v[32:33]
	v_fma_f64 v[116:117], v[100:101], s[16:17], v[124:125]
	v_add_f64 v[32:33], v[36:37], v[34:35]
	v_fma_f64 v[34:35], v[106:107], s[2:3], v[118:119]
	v_add_f64 v[26:27], v[20:21], v[26:27]
	v_mul_f64 v[36:37], v[66:67], s[28:29]
	v_fma_f64 v[114:115], v[84:85], s[2:3], v[30:31]
	v_mul_f64 v[118:119], v[102:103], s[6:7]
	v_fma_f64 v[131:132], v[86:87], s[4:5], -v[129:130]
	v_fma_f64 v[120:121], v[96:97], s[14:15], v[122:123]
	v_add_f64 v[28:29], v[28:29], v[32:33]
	v_mul_f64 v[32:33], v[62:63], s[12:13]
	v_add_f64 v[26:27], v[34:35], v[26:27]
	v_fma_f64 v[34:35], v[68:69], s[14:15], v[36:37]
	v_add_f64 v[114:115], v[24:25], v[114:115]
	v_mul_f64 v[122:123], v[108:109], s[28:29]
	v_fma_f64 v[124:125], v[110:111], s[2:3], -v[118:119]
	v_add_f64 v[4:5], v[131:132], v[133:134]
	v_fma_f64 v[112:113], v[56:57], s[4:5], -v[112:113]
	v_mul_f64 v[126:127], v[58:59], s[24:25]
	v_add_f64 v[26:27], v[116:117], v[26:27]
	v_fma_f64 v[116:117], v[86:87], s[4:5], v[129:130]
	v_fma_f64 v[129:130], v[64:65], s[4:5], v[32:33]
	v_add_f64 v[34:35], v[34:35], v[114:115]
	v_mul_f64 v[114:115], v[104:105], s[12:13]
	v_fma_f64 v[131:132], v[106:107], s[14:15], -v[122:123]
	v_add_f64 v[124:125], v[20:21], v[124:125]
	v_add_f64 v[28:29], v[112:113], v[28:29]
	;; [unrolled: 1-line block ×3, first 2 shown]
	v_mul_f64 v[112:113], v[54:55], s[8:9]
	v_fma_f64 v[120:121], v[60:61], s[16:17], v[126:127]
	v_add_f64 v[34:35], v[129:130], v[34:35]
	v_mul_f64 v[129:130], v[98:99], s[24:25]
	v_fma_f64 v[133:134], v[100:101], s[4:5], -v[114:115]
	v_add_f64 v[124:125], v[131:132], v[124:125]
	v_fma_f64 v[30:31], v[84:85], s[2:3], -v[30:31]
	v_fma_f64 v[118:119], v[110:111], s[2:3], v[118:119]
	s_mov_b32 s13, 0xbfed1bb4
	v_add_f64 v[26:27], v[116:117], v[26:27]
	v_mul_f64 v[116:117], v[88:89], s[8:9]
	v_fma_f64 v[131:132], v[56:57], s[0:1], v[112:113]
	v_add_f64 v[34:35], v[120:121], v[34:35]
	v_fma_f64 v[120:121], v[96:97], s[16:17], -v[129:130]
	v_add_f64 v[124:125], v[133:134], v[124:125]
	v_fma_f64 v[36:37], v[68:69], s[14:15], -v[36:37]
	v_add_f64 v[30:31], v[24:25], v[30:31]
	v_mul_f64 v[135:136], v[74:75], s[12:13]
	v_fma_f64 v[122:123], v[106:107], s[14:15], v[122:123]
	v_add_f64 v[118:119], v[20:21], v[118:119]
	v_fma_f64 v[133:134], v[86:87], s[0:1], -v[116:117]
	v_fma_f64 v[114:115], v[100:101], s[4:5], v[114:115]
	v_add_f64 v[120:121], v[120:121], v[124:125]
	v_fma_f64 v[124:125], v[64:65], s[4:5], -v[32:33]
	v_add_f64 v[36:37], v[36:37], v[30:31]
	v_add_f64 v[32:33], v[131:132], v[34:35]
	v_mul_f64 v[131:132], v[66:67], s[8:9]
	v_fma_f64 v[34:35], v[84:85], s[4:5], v[135:136]
	v_add_f64 v[118:119], v[122:123], v[118:119]
	v_mul_f64 v[122:123], v[62:63], s[28:29]
	v_add_f64 v[30:31], v[133:134], v[120:121]
	v_fma_f64 v[120:121], v[60:61], s[16:17], -v[126:127]
	v_add_f64 v[36:37], v[124:125], v[36:37]
	v_fma_f64 v[126:127], v[96:97], s[16:17], v[129:130]
	v_fma_f64 v[124:125], v[68:69], s[0:1], v[131:132]
	v_add_f64 v[34:35], v[24:25], v[34:35]
	v_add_f64 v[114:115], v[114:115], v[118:119]
	v_mul_f64 v[118:119], v[102:103], s[12:13]
	v_fma_f64 v[129:130], v[64:65], s[14:15], v[122:123]
	v_fma_f64 v[116:117], v[86:87], s[0:1], v[116:117]
	v_add_f64 v[36:37], v[120:121], v[36:37]
	v_mul_f64 v[120:121], v[58:59], s[26:27]
	v_fma_f64 v[135:136], v[84:85], s[4:5], -v[135:136]
	v_add_f64 v[34:35], v[124:125], v[34:35]
	v_add_f64 v[114:115], v[126:127], v[114:115]
	v_mul_f64 v[124:125], v[108:109], s[8:9]
	v_fma_f64 v[126:127], v[110:111], s[4:5], -v[118:119]
	v_mul_f64 v[137:138], v[104:105], s[28:29]
	v_fma_f64 v[131:132], v[68:69], s[0:1], -v[131:132]
	v_fma_f64 v[133:134], v[60:61], s[2:3], v[120:121]
	v_add_f64 v[135:136], v[24:25], v[135:136]
	v_add_f64 v[129:130], v[129:130], v[34:35]
	;; [unrolled: 1-line block ×3, first 2 shown]
	v_fma_f64 v[114:115], v[106:107], s[0:1], -v[124:125]
	v_add_f64 v[116:117], v[20:21], v[126:127]
	v_mul_f64 v[141:142], v[98:99], s[26:27]
	v_fma_f64 v[122:123], v[64:65], s[14:15], -v[122:123]
	v_add_f64 v[52:53], v[24:25], v[52:53]
	v_add_f64 v[131:132], v[131:132], v[135:136]
	;; [unrolled: 1-line block ×3, first 2 shown]
	v_fma_f64 v[133:134], v[100:101], s[14:15], -v[137:138]
	v_fma_f64 v[112:113], v[56:57], s[0:1], -v[112:113]
	v_add_f64 v[114:115], v[114:115], v[116:117]
	v_mul_f64 v[126:127], v[88:89], s[22:23]
	v_fma_f64 v[143:144], v[96:97], s[2:3], -v[141:142]
	v_add_f64 v[48:49], v[20:21], v[48:49]
	v_fma_f64 v[120:121], v[60:61], s[2:3], -v[120:121]
	v_add_f64 v[122:123], v[122:123], v[131:132]
	v_add_f64 v[42:43], v[42:43], v[52:53]
	;; [unrolled: 1-line block ×4, first 2 shown]
	v_mul_f64 v[112:113], v[54:55], s[22:23]
	v_fma_f64 v[116:117], v[86:87], s[16:17], -v[126:127]
	v_add_f64 v[48:49], v[40:41], v[48:49]
	v_mul_f64 v[102:103], v[102:103], s[24:25]
	v_add_f64 v[52:53], v[120:121], v[122:123]
	v_fma_f64 v[120:121], v[86:87], s[16:17], v[126:127]
	v_add_f64 v[126:127], v[38:39], v[42:43]
	v_add_f64 v[114:115], v[143:144], v[114:115]
	v_fma_f64 v[139:140], v[56:57], s[16:17], v[112:113]
	v_fma_f64 v[112:113], v[56:57], s[16:17], -v[112:113]
	v_mul_f64 v[74:75], v[74:75], s[24:25]
	v_fma_f64 v[118:119], v[110:111], s[4:5], v[118:119]
	v_mul_f64 v[66:67], v[66:67], s[12:13]
	v_fma_f64 v[124:125], v[106:107], s[0:1], v[124:125]
	v_add_f64 v[76:77], v[76:77], v[126:127]
	v_add_f64 v[38:39], v[116:117], v[114:115]
	;; [unrolled: 1-line block ×4, first 2 shown]
	v_mul_f64 v[52:53], v[88:89], s[18:19]
	v_mul_f64 v[88:89], v[108:109], s[12:13]
	v_fma_f64 v[108:109], v[110:111], s[16:17], -v[102:103]
	v_fma_f64 v[145:146], v[84:85], s[16:17], v[74:75]
	v_fma_f64 v[74:75], v[84:85], s[16:17], -v[74:75]
	v_add_f64 v[70:71], v[70:71], v[76:77]
	v_add_f64 v[72:73], v[72:73], v[114:115]
	v_mul_f64 v[84:85], v[104:105], s[6:7]
	v_fma_f64 v[102:103], v[110:111], s[16:17], v[102:103]
	v_fma_f64 v[76:77], v[106:107], s[4:5], -v[88:89]
	v_add_f64 v[104:105], v[20:21], v[108:109]
	v_add_f64 v[118:119], v[20:21], v[118:119]
	v_mul_f64 v[62:63], v[62:63], s[6:7]
	v_fma_f64 v[133:134], v[68:69], s[4:5], v[66:67]
	v_add_f64 v[72:73], v[78:79], v[72:73]
	v_add_f64 v[145:146], v[24:25], v[145:146]
	v_fma_f64 v[66:67], v[68:69], s[4:5], -v[66:67]
	v_add_f64 v[24:25], v[24:25], v[74:75]
	v_add_f64 v[18:19], v[18:19], v[70:71]
	v_fma_f64 v[68:69], v[106:107], s[4:5], v[88:89]
	v_add_f64 v[20:21], v[20:21], v[102:103]
	v_fma_f64 v[70:71], v[100:101], s[2:3], -v[84:85]
	v_add_f64 v[74:75], v[76:77], v[104:105]
	v_add_f64 v[72:73], v[90:91], v[72:73]
	v_fma_f64 v[135:136], v[100:101], s[14:15], v[137:138]
	v_add_f64 v[118:119], v[124:125], v[118:119]
	v_mul_f64 v[58:59], v[58:59], s[8:9]
	v_fma_f64 v[124:125], v[64:65], s[2:3], v[62:63]
	v_fma_f64 v[62:63], v[64:65], s[2:3], -v[62:63]
	v_add_f64 v[24:25], v[66:67], v[24:25]
	v_add_f64 v[18:19], v[82:83], v[18:19]
	v_mul_f64 v[98:99], v[98:99], s[8:9]
	v_fma_f64 v[64:65], v[100:101], s[2:3], v[84:85]
	v_add_f64 v[20:21], v[68:69], v[20:21]
	v_add_f64 v[68:69], v[70:71], v[74:75]
	;; [unrolled: 1-line block ×4, first 2 shown]
	v_mul_f64 v[54:55], v[54:55], s[18:19]
	v_fma_f64 v[135:136], v[60:61], s[0:1], v[58:59]
	v_fma_f64 v[58:59], v[60:61], s[0:1], -v[58:59]
	v_add_f64 v[24:25], v[62:63], v[24:25]
	v_add_f64 v[18:19], v[46:47], v[18:19]
	v_fma_f64 v[60:61], v[96:97], s[0:1], v[98:99]
	v_add_f64 v[20:21], v[64:65], v[20:21]
	v_add_f64 v[64:65], v[94:95], v[70:71]
	v_fma_f64 v[122:123], v[56:57], s[14:15], v[54:55]
	v_fma_f64 v[54:55], v[56:57], s[14:15], -v[54:55]
	v_fma_f64 v[66:67], v[96:97], s[0:1], -v[98:99]
	v_add_f64 v[24:25], v[58:59], v[24:25]
	v_add_f64 v[50:51], v[50:51], v[18:19]
	v_mad_u64_u32 v[58:59], s[0:1], s20, v128, 0
	v_add_f64 v[56:57], v[60:61], v[20:21]
	v_add_f64 v[60:61], v[14:15], v[64:65]
	v_mov_b32_e32 v14, v59
	v_fma_f64 v[46:47], v[86:87], s[14:15], -v[52:53]
	v_add_f64 v[20:21], v[54:55], v[24:25]
	v_mad_u64_u32 v[24:25], s[0:1], s21, v128, v[14:15]
	v_add_f64 v[14:15], v[16:17], v[50:51]
	v_lshlrev_b64 v[16:17], 4, v[22:23]
	v_fma_f64 v[52:53], v[86:87], s[14:15], v[52:53]
	v_mov_b32_e32 v22, s11
	v_add_co_u32_e32 v23, vcc, s10, v16
	v_addc_co_u32_e32 v22, vcc, v22, v17, vcc
	v_lshlrev_b64 v[16:17], 4, v[80:81]
	v_fma_f64 v[131:132], v[96:97], s[2:3], v[141:142]
	v_mov_b32_e32 v59, v24
	v_add_co_u32_e32 v50, vcc, v23, v16
	v_add_u32_e32 v24, 0x41, v128
	v_addc_co_u32_e32 v51, vcc, v22, v17, vcc
	v_mad_u64_u32 v[22:23], s[0:1], s20, v24, 0
	v_add_f64 v[12:13], v[12:13], v[60:61]
	v_add_f64 v[18:19], v[52:53], v[56:57]
	v_mad_u64_u32 v[23:24], s[0:1], s21, v24, v[23:24]
	v_add_u32_e32 v52, 0x82, v128
	v_lshlrev_b64 v[16:17], 4, v[58:59]
	v_mad_u64_u32 v[24:25], s[0:1], s20, v52, 0
	v_add_f64 v[118:119], v[131:132], v[118:119]
	v_add_co_u32_e32 v16, vcc, v50, v16
	v_addc_co_u32_e32 v17, vcc, v51, v17, vcc
	global_store_dwordx4 v[16:17], v[12:15], off
	v_add_u32_e32 v16, 0xc3, v128
	v_mov_b32_e32 v14, v25
	v_mad_u64_u32 v[14:15], s[0:1], s21, v52, v[14:15]
	v_lshlrev_b64 v[12:13], 4, v[22:23]
	v_add_f64 v[42:43], v[120:121], v[118:119]
	v_mov_b32_e32 v25, v14
	v_mad_u64_u32 v[14:15], s[0:1], s20, v16, 0
	v_add_co_u32_e32 v12, vcc, v50, v12
	v_addc_co_u32_e32 v13, vcc, v51, v13, vcc
	global_store_dwordx4 v[12:13], v[18:21], off
	v_mad_u64_u32 v[15:16], s[0:1], s21, v16, v[15:16]
	v_add_u32_e32 v18, 0x104, v128
	v_lshlrev_b64 v[12:13], 4, v[24:25]
	v_mad_u64_u32 v[16:17], s[0:1], s20, v18, 0
	v_add_co_u32_e32 v12, vcc, v50, v12
	v_addc_co_u32_e32 v13, vcc, v51, v13, vcc
	global_store_dwordx4 v[12:13], v[42:45], off
	v_lshlrev_b64 v[12:13], 4, v[14:15]
	v_mov_b32_e32 v14, v17
	v_mad_u64_u32 v[14:15], s[0:1], s21, v18, v[14:15]
	v_add_co_u32_e32 v12, vcc, v50, v12
	v_addc_co_u32_e32 v13, vcc, v51, v13, vcc
	v_mov_b32_e32 v17, v14
	global_store_dwordx4 v[12:13], v[34:37], off
	v_lshlrev_b64 v[12:13], 4, v[16:17]
	v_add_u32_e32 v16, 0x145, v128
	v_mad_u64_u32 v[14:15], s[0:1], s20, v16, 0
	v_add_co_u32_e32 v12, vcc, v50, v12
	v_mad_u64_u32 v[15:16], s[0:1], s21, v16, v[15:16]
	v_addc_co_u32_e32 v13, vcc, v51, v13, vcc
	v_add_u32_e32 v18, 0x186, v128
	v_mad_u64_u32 v[16:17], s[0:1], s20, v18, 0
	global_store_dwordx4 v[12:13], v[26:29], off
	v_lshlrev_b64 v[12:13], 4, v[14:15]
	v_mov_b32_e32 v14, v17
	v_add_co_u32_e32 v12, vcc, v50, v12
	v_addc_co_u32_e32 v13, vcc, v51, v13, vcc
	global_store_dwordx4 v[12:13], v[8:11], off
	v_add_u32_e32 v12, 0x1c7, v128
	v_mad_u64_u32 v[14:15], s[0:1], s21, v18, v[14:15]
	v_mad_u64_u32 v[10:11], s[0:1], s20, v12, 0
	v_add_f64 v[133:134], v[133:134], v[145:146]
	v_mov_b32_e32 v17, v14
	v_mad_u64_u32 v[11:12], s[0:1], s21, v12, v[11:12]
	v_add_u32_e32 v14, 0x208, v128
	v_lshlrev_b64 v[8:9], 4, v[16:17]
	v_mad_u64_u32 v[12:13], s[0:1], s20, v14, 0
	v_add_co_u32_e32 v8, vcc, v50, v8
	v_addc_co_u32_e32 v9, vcc, v51, v9, vcc
	v_add_f64 v[124:125], v[124:125], v[133:134]
	global_store_dwordx4 v[8:9], v[0:3], off
	v_add_f64 v[62:63], v[66:67], v[68:69]
	v_lshlrev_b64 v[0:1], 4, v[10:11]
	v_mov_b32_e32 v2, v13
	v_mad_u64_u32 v[2:3], s[0:1], s21, v14, v[2:3]
	v_add_co_u32_e32 v0, vcc, v50, v0
	v_addc_co_u32_e32 v1, vcc, v51, v1, vcc
	global_store_dwordx4 v[0:1], v[4:7], off
	v_mov_b32_e32 v13, v2
	v_add_u32_e32 v4, 0x249, v128
	v_mad_u64_u32 v[2:3], s[0:1], s20, v4, 0
	v_add_f64 v[124:125], v[135:136], v[124:125]
	v_add_u32_e32 v6, 0x28a, v128
	v_mad_u64_u32 v[3:4], s[0:1], s21, v4, v[3:4]
	v_lshlrev_b64 v[0:1], 4, v[12:13]
	v_mad_u64_u32 v[4:5], s[0:1], s20, v6, 0
	v_add_f64 v[40:41], v[139:140], v[129:130]
	v_add_co_u32_e32 v0, vcc, v50, v0
	v_addc_co_u32_e32 v1, vcc, v51, v1, vcc
	global_store_dwordx4 v[0:1], v[30:33], off
	v_lshlrev_b64 v[0:1], 4, v[2:3]
	v_mov_b32_e32 v2, v5
	v_mad_u64_u32 v[2:3], s[0:1], s21, v6, v[2:3]
	v_add_f64 v[48:49], v[122:123], v[124:125]
	v_add_f64 v[46:47], v[46:47], v[62:63]
	v_add_co_u32_e32 v0, vcc, v50, v0
	v_addc_co_u32_e32 v1, vcc, v51, v1, vcc
	v_mov_b32_e32 v5, v2
	global_store_dwordx4 v[0:1], v[38:41], off
	v_lshlrev_b64 v[0:1], 4, v[4:5]
	v_add_co_u32_e32 v0, vcc, v50, v0
	v_addc_co_u32_e32 v1, vcc, v51, v1, vcc
	global_store_dwordx4 v[0:1], v[46:49], off
.LBB0_26:
	s_endpgm
	.section	.rodata,"a",@progbits
	.p2align	6, 0x0
	.amdhsa_kernel fft_rtc_back_len715_factors_13_5_11_wgs_195_tpt_65_halfLds_dp_op_CI_CI_sbrr_dirReg
		.amdhsa_group_segment_fixed_size 0
		.amdhsa_private_segment_fixed_size 0
		.amdhsa_kernarg_size 104
		.amdhsa_user_sgpr_count 6
		.amdhsa_user_sgpr_private_segment_buffer 1
		.amdhsa_user_sgpr_dispatch_ptr 0
		.amdhsa_user_sgpr_queue_ptr 0
		.amdhsa_user_sgpr_kernarg_segment_ptr 1
		.amdhsa_user_sgpr_dispatch_id 0
		.amdhsa_user_sgpr_flat_scratch_init 0
		.amdhsa_user_sgpr_private_segment_size 0
		.amdhsa_uses_dynamic_stack 0
		.amdhsa_system_sgpr_private_segment_wavefront_offset 0
		.amdhsa_system_sgpr_workgroup_id_x 1
		.amdhsa_system_sgpr_workgroup_id_y 0
		.amdhsa_system_sgpr_workgroup_id_z 0
		.amdhsa_system_sgpr_workgroup_info 0
		.amdhsa_system_vgpr_workitem_id 0
		.amdhsa_next_free_vgpr 187
		.amdhsa_next_free_sgpr 50
		.amdhsa_reserve_vcc 1
		.amdhsa_reserve_flat_scratch 0
		.amdhsa_float_round_mode_32 0
		.amdhsa_float_round_mode_16_64 0
		.amdhsa_float_denorm_mode_32 3
		.amdhsa_float_denorm_mode_16_64 3
		.amdhsa_dx10_clamp 1
		.amdhsa_ieee_mode 1
		.amdhsa_fp16_overflow 0
		.amdhsa_exception_fp_ieee_invalid_op 0
		.amdhsa_exception_fp_denorm_src 0
		.amdhsa_exception_fp_ieee_div_zero 0
		.amdhsa_exception_fp_ieee_overflow 0
		.amdhsa_exception_fp_ieee_underflow 0
		.amdhsa_exception_fp_ieee_inexact 0
		.amdhsa_exception_int_div_zero 0
	.end_amdhsa_kernel
	.text
.Lfunc_end0:
	.size	fft_rtc_back_len715_factors_13_5_11_wgs_195_tpt_65_halfLds_dp_op_CI_CI_sbrr_dirReg, .Lfunc_end0-fft_rtc_back_len715_factors_13_5_11_wgs_195_tpt_65_halfLds_dp_op_CI_CI_sbrr_dirReg
                                        ; -- End function
	.section	.AMDGPU.csdata,"",@progbits
; Kernel info:
; codeLenInByte = 12832
; NumSgprs: 54
; NumVgprs: 187
; ScratchSize: 0
; MemoryBound: 1
; FloatMode: 240
; IeeeMode: 1
; LDSByteSize: 0 bytes/workgroup (compile time only)
; SGPRBlocks: 6
; VGPRBlocks: 46
; NumSGPRsForWavesPerEU: 54
; NumVGPRsForWavesPerEU: 187
; Occupancy: 1
; WaveLimiterHint : 1
; COMPUTE_PGM_RSRC2:SCRATCH_EN: 0
; COMPUTE_PGM_RSRC2:USER_SGPR: 6
; COMPUTE_PGM_RSRC2:TRAP_HANDLER: 0
; COMPUTE_PGM_RSRC2:TGID_X_EN: 1
; COMPUTE_PGM_RSRC2:TGID_Y_EN: 0
; COMPUTE_PGM_RSRC2:TGID_Z_EN: 0
; COMPUTE_PGM_RSRC2:TIDIG_COMP_CNT: 0
	.type	__hip_cuid_7a6cb7e0862212fe,@object ; @__hip_cuid_7a6cb7e0862212fe
	.section	.bss,"aw",@nobits
	.globl	__hip_cuid_7a6cb7e0862212fe
__hip_cuid_7a6cb7e0862212fe:
	.byte	0                               ; 0x0
	.size	__hip_cuid_7a6cb7e0862212fe, 1

	.ident	"AMD clang version 19.0.0git (https://github.com/RadeonOpenCompute/llvm-project roc-6.4.0 25133 c7fe45cf4b819c5991fe208aaa96edf142730f1d)"
	.section	".note.GNU-stack","",@progbits
	.addrsig
	.addrsig_sym __hip_cuid_7a6cb7e0862212fe
	.amdgpu_metadata
---
amdhsa.kernels:
  - .args:
      - .actual_access:  read_only
        .address_space:  global
        .offset:         0
        .size:           8
        .value_kind:     global_buffer
      - .offset:         8
        .size:           8
        .value_kind:     by_value
      - .actual_access:  read_only
        .address_space:  global
        .offset:         16
        .size:           8
        .value_kind:     global_buffer
      - .actual_access:  read_only
        .address_space:  global
        .offset:         24
        .size:           8
        .value_kind:     global_buffer
      - .actual_access:  read_only
        .address_space:  global
        .offset:         32
        .size:           8
        .value_kind:     global_buffer
      - .offset:         40
        .size:           8
        .value_kind:     by_value
      - .actual_access:  read_only
        .address_space:  global
        .offset:         48
        .size:           8
        .value_kind:     global_buffer
      - .actual_access:  read_only
        .address_space:  global
        .offset:         56
        .size:           8
        .value_kind:     global_buffer
      - .offset:         64
        .size:           4
        .value_kind:     by_value
      - .actual_access:  read_only
        .address_space:  global
        .offset:         72
        .size:           8
        .value_kind:     global_buffer
      - .actual_access:  read_only
        .address_space:  global
        .offset:         80
        .size:           8
        .value_kind:     global_buffer
      - .actual_access:  read_only
        .address_space:  global
        .offset:         88
        .size:           8
        .value_kind:     global_buffer
      - .actual_access:  write_only
        .address_space:  global
        .offset:         96
        .size:           8
        .value_kind:     global_buffer
    .group_segment_fixed_size: 0
    .kernarg_segment_align: 8
    .kernarg_segment_size: 104
    .language:       OpenCL C
    .language_version:
      - 2
      - 0
    .max_flat_workgroup_size: 195
    .name:           fft_rtc_back_len715_factors_13_5_11_wgs_195_tpt_65_halfLds_dp_op_CI_CI_sbrr_dirReg
    .private_segment_fixed_size: 0
    .sgpr_count:     54
    .sgpr_spill_count: 0
    .symbol:         fft_rtc_back_len715_factors_13_5_11_wgs_195_tpt_65_halfLds_dp_op_CI_CI_sbrr_dirReg.kd
    .uniform_work_group_size: 1
    .uses_dynamic_stack: false
    .vgpr_count:     187
    .vgpr_spill_count: 0
    .wavefront_size: 64
amdhsa.target:   amdgcn-amd-amdhsa--gfx906
amdhsa.version:
  - 1
  - 2
...

	.end_amdgpu_metadata
